;; amdgpu-corpus repo=ROCm/rocFFT kind=compiled arch=gfx1201 opt=O3
	.text
	.amdgcn_target "amdgcn-amd-amdhsa--gfx1201"
	.amdhsa_code_object_version 6
	.protected	fft_rtc_back_len2560_factors_4_4_4_10_4_wgs_128_tpt_128_halfLds_dp_ip_CI_unitstride_sbrr_C2R_dirReg ; -- Begin function fft_rtc_back_len2560_factors_4_4_4_10_4_wgs_128_tpt_128_halfLds_dp_ip_CI_unitstride_sbrr_C2R_dirReg
	.globl	fft_rtc_back_len2560_factors_4_4_4_10_4_wgs_128_tpt_128_halfLds_dp_ip_CI_unitstride_sbrr_C2R_dirReg
	.p2align	8
	.type	fft_rtc_back_len2560_factors_4_4_4_10_4_wgs_128_tpt_128_halfLds_dp_ip_CI_unitstride_sbrr_C2R_dirReg,@function
fft_rtc_back_len2560_factors_4_4_4_10_4_wgs_128_tpt_128_halfLds_dp_ip_CI_unitstride_sbrr_C2R_dirReg: ; @fft_rtc_back_len2560_factors_4_4_4_10_4_wgs_128_tpt_128_halfLds_dp_ip_CI_unitstride_sbrr_C2R_dirReg
; %bb.0:
	s_clause 0x2
	s_load_b128 s[4:7], s[0:1], 0x0
	s_load_b64 s[8:9], s[0:1], 0x50
	s_load_b64 s[10:11], s[0:1], 0x18
	v_mov_b32_e32 v3, 0
	v_mov_b32_e32 v1, 0
	v_dual_mov_b32 v2, 0 :: v_dual_mov_b32 v5, ttmp9
	s_mov_b32 s3, 0
	s_delay_alu instid0(VALU_DEP_3) | instskip(SKIP_2) | instid1(VALU_DEP_1)
	v_mov_b32_e32 v6, v3
	s_wait_kmcnt 0x0
	v_cmp_lt_u64_e64 s2, s[6:7], 2
	s_and_b32 vcc_lo, exec_lo, s2
	s_cbranch_vccnz .LBB0_8
; %bb.1:
	s_load_b64 s[14:15], s[0:1], 0x10
	v_mov_b32_e32 v1, 0
	v_mov_b32_e32 v2, 0
	s_add_nc_u64 s[12:13], s[10:11], 8
	s_mov_b64 s[16:17], 1
	s_wait_kmcnt 0x0
	s_add_nc_u64 s[14:15], s[14:15], 8
.LBB0_2:                                ; =>This Inner Loop Header: Depth=1
	s_load_b64 s[18:19], s[14:15], 0x0
                                        ; implicit-def: $vgpr7_vgpr8
	s_mov_b32 s2, exec_lo
	s_wait_kmcnt 0x0
	v_or_b32_e32 v4, s19, v6
	s_delay_alu instid0(VALU_DEP_1)
	v_cmpx_ne_u64_e32 0, v[3:4]
	s_wait_alu 0xfffe
	s_xor_b32 s20, exec_lo, s2
	s_cbranch_execz .LBB0_4
; %bb.3:                                ;   in Loop: Header=BB0_2 Depth=1
	s_cvt_f32_u32 s2, s18
	s_cvt_f32_u32 s21, s19
	s_sub_nc_u64 s[24:25], 0, s[18:19]
	s_wait_alu 0xfffe
	s_delay_alu instid0(SALU_CYCLE_1) | instskip(SKIP_1) | instid1(SALU_CYCLE_2)
	s_fmamk_f32 s2, s21, 0x4f800000, s2
	s_wait_alu 0xfffe
	v_s_rcp_f32 s2, s2
	s_delay_alu instid0(TRANS32_DEP_1) | instskip(SKIP_1) | instid1(SALU_CYCLE_2)
	s_mul_f32 s2, s2, 0x5f7ffffc
	s_wait_alu 0xfffe
	s_mul_f32 s21, s2, 0x2f800000
	s_wait_alu 0xfffe
	s_delay_alu instid0(SALU_CYCLE_2) | instskip(SKIP_1) | instid1(SALU_CYCLE_2)
	s_trunc_f32 s21, s21
	s_wait_alu 0xfffe
	s_fmamk_f32 s2, s21, 0xcf800000, s2
	s_cvt_u32_f32 s23, s21
	s_wait_alu 0xfffe
	s_delay_alu instid0(SALU_CYCLE_1) | instskip(SKIP_1) | instid1(SALU_CYCLE_2)
	s_cvt_u32_f32 s22, s2
	s_wait_alu 0xfffe
	s_mul_u64 s[26:27], s[24:25], s[22:23]
	s_wait_alu 0xfffe
	s_mul_hi_u32 s29, s22, s27
	s_mul_i32 s28, s22, s27
	s_mul_hi_u32 s2, s22, s26
	s_mul_i32 s30, s23, s26
	s_wait_alu 0xfffe
	s_add_nc_u64 s[28:29], s[2:3], s[28:29]
	s_mul_hi_u32 s21, s23, s26
	s_mul_hi_u32 s31, s23, s27
	s_add_co_u32 s2, s28, s30
	s_wait_alu 0xfffe
	s_add_co_ci_u32 s2, s29, s21
	s_mul_i32 s26, s23, s27
	s_add_co_ci_u32 s27, s31, 0
	s_wait_alu 0xfffe
	s_add_nc_u64 s[26:27], s[2:3], s[26:27]
	s_wait_alu 0xfffe
	v_add_co_u32 v4, s2, s22, s26
	s_delay_alu instid0(VALU_DEP_1) | instskip(SKIP_1) | instid1(VALU_DEP_1)
	s_cmp_lg_u32 s2, 0
	s_add_co_ci_u32 s23, s23, s27
	v_readfirstlane_b32 s22, v4
	s_wait_alu 0xfffe
	s_delay_alu instid0(VALU_DEP_1)
	s_mul_u64 s[24:25], s[24:25], s[22:23]
	s_wait_alu 0xfffe
	s_mul_hi_u32 s27, s22, s25
	s_mul_i32 s26, s22, s25
	s_mul_hi_u32 s2, s22, s24
	s_mul_i32 s28, s23, s24
	s_wait_alu 0xfffe
	s_add_nc_u64 s[26:27], s[2:3], s[26:27]
	s_mul_hi_u32 s21, s23, s24
	s_mul_hi_u32 s22, s23, s25
	s_wait_alu 0xfffe
	s_add_co_u32 s2, s26, s28
	s_add_co_ci_u32 s2, s27, s21
	s_mul_i32 s24, s23, s25
	s_add_co_ci_u32 s25, s22, 0
	s_wait_alu 0xfffe
	s_add_nc_u64 s[24:25], s[2:3], s[24:25]
	s_wait_alu 0xfffe
	v_add_co_u32 v4, s2, v4, s24
	s_delay_alu instid0(VALU_DEP_1) | instskip(SKIP_1) | instid1(VALU_DEP_1)
	s_cmp_lg_u32 s2, 0
	s_add_co_ci_u32 s2, s23, s25
	v_mul_hi_u32 v13, v5, v4
	s_wait_alu 0xfffe
	v_mad_co_u64_u32 v[7:8], null, v5, s2, 0
	v_mad_co_u64_u32 v[9:10], null, v6, v4, 0
	;; [unrolled: 1-line block ×3, first 2 shown]
	s_delay_alu instid0(VALU_DEP_3) | instskip(SKIP_1) | instid1(VALU_DEP_4)
	v_add_co_u32 v4, vcc_lo, v13, v7
	s_wait_alu 0xfffd
	v_add_co_ci_u32_e32 v7, vcc_lo, 0, v8, vcc_lo
	s_delay_alu instid0(VALU_DEP_2) | instskip(SKIP_1) | instid1(VALU_DEP_2)
	v_add_co_u32 v4, vcc_lo, v4, v9
	s_wait_alu 0xfffd
	v_add_co_ci_u32_e32 v4, vcc_lo, v7, v10, vcc_lo
	s_wait_alu 0xfffd
	v_add_co_ci_u32_e32 v7, vcc_lo, 0, v12, vcc_lo
	s_delay_alu instid0(VALU_DEP_2) | instskip(SKIP_1) | instid1(VALU_DEP_2)
	v_add_co_u32 v4, vcc_lo, v4, v11
	s_wait_alu 0xfffd
	v_add_co_ci_u32_e32 v9, vcc_lo, 0, v7, vcc_lo
	s_delay_alu instid0(VALU_DEP_2) | instskip(SKIP_1) | instid1(VALU_DEP_3)
	v_mul_lo_u32 v10, s19, v4
	v_mad_co_u64_u32 v[7:8], null, s18, v4, 0
	v_mul_lo_u32 v11, s18, v9
	s_delay_alu instid0(VALU_DEP_2) | instskip(NEXT) | instid1(VALU_DEP_2)
	v_sub_co_u32 v7, vcc_lo, v5, v7
	v_add3_u32 v8, v8, v11, v10
	s_delay_alu instid0(VALU_DEP_1) | instskip(SKIP_1) | instid1(VALU_DEP_1)
	v_sub_nc_u32_e32 v10, v6, v8
	s_wait_alu 0xfffd
	v_subrev_co_ci_u32_e64 v10, s2, s19, v10, vcc_lo
	v_add_co_u32 v11, s2, v4, 2
	s_wait_alu 0xf1ff
	v_add_co_ci_u32_e64 v12, s2, 0, v9, s2
	v_sub_co_u32 v13, s2, v7, s18
	v_sub_co_ci_u32_e32 v8, vcc_lo, v6, v8, vcc_lo
	s_wait_alu 0xf1ff
	v_subrev_co_ci_u32_e64 v10, s2, 0, v10, s2
	s_delay_alu instid0(VALU_DEP_3) | instskip(NEXT) | instid1(VALU_DEP_3)
	v_cmp_le_u32_e32 vcc_lo, s18, v13
	v_cmp_eq_u32_e64 s2, s19, v8
	s_wait_alu 0xfffd
	v_cndmask_b32_e64 v13, 0, -1, vcc_lo
	v_cmp_le_u32_e32 vcc_lo, s19, v10
	s_wait_alu 0xfffd
	v_cndmask_b32_e64 v14, 0, -1, vcc_lo
	v_cmp_le_u32_e32 vcc_lo, s18, v7
	;; [unrolled: 3-line block ×3, first 2 shown]
	s_wait_alu 0xfffd
	v_cndmask_b32_e64 v15, 0, -1, vcc_lo
	v_cmp_eq_u32_e32 vcc_lo, s19, v10
	s_wait_alu 0xf1ff
	s_delay_alu instid0(VALU_DEP_2)
	v_cndmask_b32_e64 v7, v15, v7, s2
	s_wait_alu 0xfffd
	v_cndmask_b32_e32 v10, v14, v13, vcc_lo
	v_add_co_u32 v13, vcc_lo, v4, 1
	s_wait_alu 0xfffd
	v_add_co_ci_u32_e32 v14, vcc_lo, 0, v9, vcc_lo
	s_delay_alu instid0(VALU_DEP_3) | instskip(SKIP_2) | instid1(VALU_DEP_3)
	v_cmp_ne_u32_e32 vcc_lo, 0, v10
	s_wait_alu 0xfffd
	v_cndmask_b32_e32 v10, v13, v11, vcc_lo
	v_cndmask_b32_e32 v8, v14, v12, vcc_lo
	v_cmp_ne_u32_e32 vcc_lo, 0, v7
	s_wait_alu 0xfffd
	s_delay_alu instid0(VALU_DEP_2)
	v_dual_cndmask_b32 v7, v4, v10 :: v_dual_cndmask_b32 v8, v9, v8
.LBB0_4:                                ;   in Loop: Header=BB0_2 Depth=1
	s_wait_alu 0xfffe
	s_and_not1_saveexec_b32 s2, s20
	s_cbranch_execz .LBB0_6
; %bb.5:                                ;   in Loop: Header=BB0_2 Depth=1
	v_cvt_f32_u32_e32 v4, s18
	s_sub_co_i32 s20, 0, s18
	s_delay_alu instid0(VALU_DEP_1) | instskip(NEXT) | instid1(TRANS32_DEP_1)
	v_rcp_iflag_f32_e32 v4, v4
	v_mul_f32_e32 v4, 0x4f7ffffe, v4
	s_delay_alu instid0(VALU_DEP_1) | instskip(SKIP_1) | instid1(VALU_DEP_1)
	v_cvt_u32_f32_e32 v4, v4
	s_wait_alu 0xfffe
	v_mul_lo_u32 v7, s20, v4
	s_delay_alu instid0(VALU_DEP_1) | instskip(NEXT) | instid1(VALU_DEP_1)
	v_mul_hi_u32 v7, v4, v7
	v_add_nc_u32_e32 v4, v4, v7
	s_delay_alu instid0(VALU_DEP_1) | instskip(NEXT) | instid1(VALU_DEP_1)
	v_mul_hi_u32 v4, v5, v4
	v_mul_lo_u32 v7, v4, s18
	v_add_nc_u32_e32 v8, 1, v4
	s_delay_alu instid0(VALU_DEP_2) | instskip(NEXT) | instid1(VALU_DEP_1)
	v_sub_nc_u32_e32 v7, v5, v7
	v_subrev_nc_u32_e32 v9, s18, v7
	v_cmp_le_u32_e32 vcc_lo, s18, v7
	s_wait_alu 0xfffd
	s_delay_alu instid0(VALU_DEP_2) | instskip(NEXT) | instid1(VALU_DEP_1)
	v_dual_cndmask_b32 v7, v7, v9 :: v_dual_cndmask_b32 v4, v4, v8
	v_cmp_le_u32_e32 vcc_lo, s18, v7
	s_delay_alu instid0(VALU_DEP_2) | instskip(SKIP_1) | instid1(VALU_DEP_1)
	v_add_nc_u32_e32 v8, 1, v4
	s_wait_alu 0xfffd
	v_dual_cndmask_b32 v7, v4, v8 :: v_dual_mov_b32 v8, v3
.LBB0_6:                                ;   in Loop: Header=BB0_2 Depth=1
	s_wait_alu 0xfffe
	s_or_b32 exec_lo, exec_lo, s2
	s_load_b64 s[20:21], s[12:13], 0x0
	s_delay_alu instid0(VALU_DEP_1)
	v_mul_lo_u32 v4, v8, s18
	v_mul_lo_u32 v11, v7, s19
	v_mad_co_u64_u32 v[9:10], null, v7, s18, 0
	s_add_nc_u64 s[16:17], s[16:17], 1
	s_add_nc_u64 s[12:13], s[12:13], 8
	s_wait_alu 0xfffe
	v_cmp_ge_u64_e64 s2, s[16:17], s[6:7]
	s_add_nc_u64 s[14:15], s[14:15], 8
	s_delay_alu instid0(VALU_DEP_2) | instskip(NEXT) | instid1(VALU_DEP_3)
	v_add3_u32 v4, v10, v11, v4
	v_sub_co_u32 v5, vcc_lo, v5, v9
	s_wait_alu 0xfffd
	s_delay_alu instid0(VALU_DEP_2) | instskip(SKIP_3) | instid1(VALU_DEP_2)
	v_sub_co_ci_u32_e32 v4, vcc_lo, v6, v4, vcc_lo
	s_and_b32 vcc_lo, exec_lo, s2
	s_wait_kmcnt 0x0
	v_mul_lo_u32 v6, s21, v5
	v_mul_lo_u32 v4, s20, v4
	v_mad_co_u64_u32 v[1:2], null, s20, v5, v[1:2]
	s_delay_alu instid0(VALU_DEP_1)
	v_add3_u32 v2, v6, v2, v4
	s_wait_alu 0xfffe
	s_cbranch_vccnz .LBB0_9
; %bb.7:                                ;   in Loop: Header=BB0_2 Depth=1
	v_dual_mov_b32 v5, v7 :: v_dual_mov_b32 v6, v8
	s_branch .LBB0_2
.LBB0_8:
	v_dual_mov_b32 v8, v6 :: v_dual_mov_b32 v7, v5
.LBB0_9:
	s_lshl_b64 s[2:3], s[6:7], 3
	v_mov_b32_e32 v20, v0
	s_wait_alu 0xfffe
	s_add_nc_u64 s[2:3], s[10:11], s[2:3]
	s_load_b64 s[2:3], s[2:3], 0x0
	s_load_b64 s[0:1], s[0:1], 0x20
	s_wait_kmcnt 0x0
	v_mul_lo_u32 v3, s2, v8
	v_mul_lo_u32 v4, s3, v7
	v_mad_co_u64_u32 v[1:2], null, s2, v7, v[1:2]
	v_cmp_gt_u64_e32 vcc_lo, s[0:1], v[7:8]
	s_delay_alu instid0(VALU_DEP_2) | instskip(NEXT) | instid1(VALU_DEP_1)
	v_add3_u32 v2, v4, v2, v3
	v_lshlrev_b64_e32 v[22:23], 4, v[1:2]
	s_and_saveexec_b32 s1, vcc_lo
	s_cbranch_execz .LBB0_13
; %bb.10:
	v_lshlrev_b32_e32 v21, 4, v0
	s_delay_alu instid0(VALU_DEP_2) | instskip(SKIP_2) | instid1(VALU_DEP_3)
	v_add_co_u32 v1, s0, s8, v22
	s_wait_alu 0xf1ff
	v_add_co_ci_u32_e64 v2, s0, s9, v23, s0
	v_or_b32_e32 v88, 0x3800, v21
	s_delay_alu instid0(VALU_DEP_3)
	v_add_co_u32 v19, s0, v1, v21
	v_or_b32_e32 v89, 0x7800, v21
	s_wait_alu 0xf1ff
	v_add_co_ci_u32_e64 v20, s0, 0, v2, s0
	v_add_co_u32 v72, s0, v1, v88
	s_wait_alu 0xf1ff
	v_add_co_ci_u32_e64 v73, s0, 0, v2, s0
	v_add_co_u32 v76, s0, v1, v89
	s_wait_alu 0xf1ff
	v_add_co_ci_u32_e64 v77, s0, 0, v2, s0
	s_clause 0x13
	global_load_b128 v[3:6], v[19:20], off
	global_load_b128 v[7:10], v[19:20], off offset:2048
	global_load_b128 v[11:14], v[19:20], off offset:4096
	;; [unrolled: 1-line block ×15, first 2 shown]
	global_load_b128 v[72:75], v[72:73], off
	global_load_b128 v[76:79], v[76:77], off
	global_load_b128 v[80:83], v[19:20], off offset:36864
	global_load_b128 v[84:87], v[19:20], off offset:38912
	v_dual_mov_b32 v20, v0 :: v_dual_add_nc_u32 v19, 0, v21
	v_cmp_eq_u32_e64 s0, 0x7f, v0
	v_add_nc_u32_e32 v21, 0, v88
	v_add_nc_u32_e32 v88, 0, v89
	s_wait_loadcnt 0x13
	ds_store_b128 v19, v[3:6]
	s_wait_loadcnt 0x12
	ds_store_b128 v19, v[7:10] offset:2048
	s_wait_loadcnt 0x11
	ds_store_b128 v19, v[11:14] offset:4096
	s_wait_loadcnt 0x10
	ds_store_b128 v19, v[15:18] offset:6144
	s_wait_loadcnt 0xf
	ds_store_b128 v19, v[24:27] offset:8192
	s_wait_loadcnt 0xe
	ds_store_b128 v19, v[28:31] offset:10240
	s_wait_loadcnt 0xd
	ds_store_b128 v19, v[32:35] offset:12288
	s_wait_loadcnt 0xc
	ds_store_b128 v19, v[36:39] offset:16384
	s_wait_loadcnt 0xb
	ds_store_b128 v19, v[40:43] offset:18432
	s_wait_loadcnt 0xa
	ds_store_b128 v19, v[44:47] offset:20480
	s_wait_loadcnt 0x9
	ds_store_b128 v19, v[48:51] offset:22528
	s_wait_loadcnt 0x8
	ds_store_b128 v19, v[52:55] offset:24576
	s_wait_loadcnt 0x7
	ds_store_b128 v19, v[56:59] offset:26624
	s_wait_loadcnt 0x6
	ds_store_b128 v19, v[60:63] offset:28672
	s_wait_loadcnt 0x5
	ds_store_b128 v19, v[64:67] offset:32768
	s_wait_loadcnt 0x4
	ds_store_b128 v19, v[68:71] offset:34816
	s_wait_loadcnt 0x3
	ds_store_b128 v21, v[72:75]
	s_wait_loadcnt 0x2
	ds_store_b128 v88, v[76:79]
	s_wait_loadcnt 0x1
	ds_store_b128 v19, v[80:83] offset:36864
	s_wait_loadcnt 0x0
	ds_store_b128 v19, v[84:87] offset:38912
	s_and_saveexec_b32 s2, s0
	s_cbranch_execz .LBB0_12
; %bb.11:
	global_load_b128 v[1:4], v[1:2], off offset:40960
	v_dual_mov_b32 v5, 0 :: v_dual_mov_b32 v20, 0x7f
	s_wait_loadcnt 0x0
	ds_store_b128 v5, v[1:4] offset:40960
.LBB0_12:
	s_wait_alu 0xfffe
	s_or_b32 exec_lo, exec_lo, s2
.LBB0_13:
	s_wait_alu 0xfffe
	s_or_b32 exec_lo, exec_lo, s1
	v_lshlrev_b32_e32 v12, 4, v20
	global_wb scope:SCOPE_SE
	s_wait_dscnt 0x0
	s_barrier_signal -1
	s_barrier_wait -1
	global_inv scope:SCOPE_SE
	v_add_nc_u32_e32 v48, 0, v12
	v_sub_nc_u32_e32 v11, 0, v12
	v_cmp_ne_u32_e64 s0, 0, v20
                                        ; implicit-def: $vgpr5_vgpr6
	ds_load_b64 v[7:8], v48
	ds_load_b64 v[9:10], v11 offset:40960
	s_wait_dscnt 0x0
	v_add_f64_e32 v[1:2], v[7:8], v[9:10]
	v_add_f64_e64 v[3:4], v[7:8], -v[9:10]
	s_and_saveexec_b32 s1, s0
	s_wait_alu 0xfffe
	s_xor_b32 s0, exec_lo, s1
	s_cbranch_execz .LBB0_15
; %bb.14:
	global_load_b128 v[3:6], v12, s[4:5] offset:40896
	ds_load_b64 v[1:2], v11 offset:40968
	ds_load_b64 v[12:13], v48 offset:8
	v_add_f64_e32 v[14:15], v[7:8], v[9:10]
	v_add_f64_e64 v[16:17], v[7:8], -v[9:10]
	v_mov_b32_e32 v21, 0
	s_wait_dscnt 0x0
	v_add_f64_e32 v[7:8], v[1:2], v[12:13]
	v_add_f64_e64 v[1:2], v[12:13], -v[1:2]
	s_wait_loadcnt 0x0
	s_delay_alu instid0(VALU_DEP_4) | instskip(SKIP_1) | instid1(VALU_DEP_3)
	v_fma_f64 v[9:10], v[16:17], v[5:6], v[14:15]
	v_fma_f64 v[12:13], -v[16:17], v[5:6], v[14:15]
	v_fma_f64 v[14:15], v[7:8], v[5:6], -v[1:2]
	v_fma_f64 v[5:6], v[7:8], v[5:6], v[1:2]
	s_delay_alu instid0(VALU_DEP_4) | instskip(NEXT) | instid1(VALU_DEP_4)
	v_fma_f64 v[1:2], -v[7:8], v[3:4], v[9:10]
	v_fma_f64 v[7:8], v[7:8], v[3:4], v[12:13]
	s_delay_alu instid0(VALU_DEP_4) | instskip(NEXT) | instid1(VALU_DEP_4)
	v_fma_f64 v[9:10], v[16:17], v[3:4], v[14:15]
	v_fma_f64 v[3:4], v[16:17], v[3:4], v[5:6]
	v_dual_mov_b32 v5, v20 :: v_dual_mov_b32 v6, v21
	ds_store_b128 v11, v[7:10] offset:40960
.LBB0_15:
	s_wait_alu 0xfffe
	s_and_not1_saveexec_b32 s0, s0
	s_cbranch_execz .LBB0_17
; %bb.16:
	v_mov_b32_e32 v9, 0
	ds_load_b128 v[5:8], v9 offset:20480
	s_wait_dscnt 0x0
	v_add_f64_e32 v[12:13], v[5:6], v[5:6]
	v_mul_f64_e32 v[14:15], -2.0, v[7:8]
	v_mov_b32_e32 v5, 0
	v_mov_b32_e32 v6, 0
	ds_store_b128 v9, v[12:15] offset:20480
.LBB0_17:
	s_wait_alu 0xfffe
	s_or_b32 exec_lo, exec_lo, s0
	v_lshlrev_b64_e32 v[5:6], 4, v[5:6]
	s_add_nc_u64 s[0:1], s[4:5], 0x9fc0
	v_lshl_or_b32 v21, v0, 4, 0x3800
	s_mov_b32 s6, 0x134454ff
	s_mov_b32 s7, 0xbfee6f0e
	;; [unrolled: 1-line block ×3, first 2 shown]
	s_wait_alu 0xfffe
	v_add_co_u32 v5, s0, s0, v5
	s_wait_alu 0xf1ff
	v_add_co_ci_u32_e64 v6, s0, s1, v6, s0
	s_mov_b32 s1, 0x3fee6f0e
	s_mov_b32 s0, s6
	;; [unrolled: 1-line block ×3, first 2 shown]
	s_clause 0x1
	global_load_b128 v[7:10], v[5:6], off offset:2048
	global_load_b128 v[12:15], v[5:6], off offset:4096
	ds_store_b128 v48, v[1:4]
	ds_load_b128 v[1:4], v48 offset:2048
	ds_load_b128 v[16:19], v11 offset:38912
	global_load_b128 v[24:27], v[5:6], off offset:6144
	s_mov_b32 s3, 0x3fe2cf23
	s_mov_b32 s2, s10
	s_mov_b32 s12, 0x372fe950
	s_mov_b32 s13, 0x3fd3c6ef
	s_mov_b32 s14, 0x9b97f4a8
	s_mov_b32 s15, 0x3fe9e377
	s_mov_b32 s17, 0xbfd3c6ef
	s_mov_b32 s16, s12
	s_mov_b32 s19, 0xbfe9e377
	s_mov_b32 s18, s14
	s_wait_dscnt 0x0
	v_add_f64_e32 v[28:29], v[1:2], v[16:17]
	v_add_f64_e32 v[30:31], v[18:19], v[3:4]
	v_add_f64_e64 v[32:33], v[1:2], -v[16:17]
	v_add_f64_e64 v[1:2], v[3:4], -v[18:19]
	s_wait_loadcnt 0x2
	s_delay_alu instid0(VALU_DEP_2) | instskip(NEXT) | instid1(VALU_DEP_2)
	v_fma_f64 v[3:4], v[32:33], v[9:10], v[28:29]
	v_fma_f64 v[16:17], v[30:31], v[9:10], v[1:2]
	v_fma_f64 v[18:19], -v[32:33], v[9:10], v[28:29]
	v_fma_f64 v[9:10], v[30:31], v[9:10], -v[1:2]
	s_delay_alu instid0(VALU_DEP_4) | instskip(NEXT) | instid1(VALU_DEP_4)
	v_fma_f64 v[1:2], -v[30:31], v[7:8], v[3:4]
	v_fma_f64 v[3:4], v[32:33], v[7:8], v[16:17]
	s_delay_alu instid0(VALU_DEP_4) | instskip(NEXT) | instid1(VALU_DEP_4)
	v_fma_f64 v[16:17], v[30:31], v[7:8], v[18:19]
	v_fma_f64 v[18:19], v[32:33], v[7:8], v[9:10]
	ds_store_b128 v48, v[1:4] offset:2048
	ds_store_b128 v11, v[16:19] offset:38912
	ds_load_b128 v[1:4], v48 offset:4096
	ds_load_b128 v[7:10], v11 offset:36864
	global_load_b128 v[16:19], v[5:6], off offset:8192
	s_wait_dscnt 0x0
	v_add_f64_e32 v[28:29], v[1:2], v[7:8]
	v_add_f64_e32 v[30:31], v[9:10], v[3:4]
	v_add_f64_e64 v[32:33], v[1:2], -v[7:8]
	v_add_f64_e64 v[1:2], v[3:4], -v[9:10]
	s_wait_loadcnt 0x2
	s_delay_alu instid0(VALU_DEP_2) | instskip(NEXT) | instid1(VALU_DEP_2)
	v_fma_f64 v[3:4], v[32:33], v[14:15], v[28:29]
	v_fma_f64 v[7:8], v[30:31], v[14:15], v[1:2]
	v_fma_f64 v[9:10], -v[32:33], v[14:15], v[28:29]
	v_fma_f64 v[14:15], v[30:31], v[14:15], -v[1:2]
	s_delay_alu instid0(VALU_DEP_4) | instskip(NEXT) | instid1(VALU_DEP_4)
	v_fma_f64 v[1:2], -v[30:31], v[12:13], v[3:4]
	v_fma_f64 v[3:4], v[32:33], v[12:13], v[7:8]
	s_delay_alu instid0(VALU_DEP_4) | instskip(NEXT) | instid1(VALU_DEP_4)
	v_fma_f64 v[7:8], v[30:31], v[12:13], v[9:10]
	v_fma_f64 v[9:10], v[32:33], v[12:13], v[14:15]
	ds_store_b128 v48, v[1:4] offset:4096
	ds_store_b128 v11, v[7:10] offset:36864
	ds_load_b128 v[1:4], v48 offset:6144
	ds_load_b128 v[7:10], v11 offset:34816
	global_load_b128 v[12:15], v[5:6], off offset:10240
	;; [unrolled: 22-line block ×3, first 2 shown]
	s_wait_dscnt 0x0
	v_add_f64_e32 v[28:29], v[1:2], v[7:8]
	v_add_f64_e32 v[30:31], v[9:10], v[3:4]
	v_add_f64_e64 v[32:33], v[1:2], -v[7:8]
	v_add_f64_e64 v[1:2], v[3:4], -v[9:10]
	s_wait_loadcnt 0x2
	s_delay_alu instid0(VALU_DEP_2) | instskip(NEXT) | instid1(VALU_DEP_2)
	v_fma_f64 v[3:4], v[32:33], v[18:19], v[28:29]
	v_fma_f64 v[7:8], v[30:31], v[18:19], v[1:2]
	v_fma_f64 v[9:10], -v[32:33], v[18:19], v[28:29]
	v_fma_f64 v[18:19], v[30:31], v[18:19], -v[1:2]
	s_delay_alu instid0(VALU_DEP_4) | instskip(NEXT) | instid1(VALU_DEP_4)
	v_fma_f64 v[1:2], -v[30:31], v[16:17], v[3:4]
	v_fma_f64 v[3:4], v[32:33], v[16:17], v[7:8]
	s_delay_alu instid0(VALU_DEP_4) | instskip(NEXT) | instid1(VALU_DEP_4)
	v_fma_f64 v[7:8], v[30:31], v[16:17], v[9:10]
	v_fma_f64 v[9:10], v[32:33], v[16:17], v[18:19]
	ds_store_b128 v48, v[1:4] offset:8192
	ds_store_b128 v11, v[7:10] offset:32768
	ds_load_b128 v[1:4], v48 offset:10240
	ds_load_b128 v[7:10], v11 offset:30720
	global_load_b128 v[16:19], v21, s[4:5] offset:40896
	v_add_nc_u32_e32 v21, 0, v21
	s_wait_dscnt 0x0
	v_add_f64_e32 v[28:29], v[1:2], v[7:8]
	v_add_f64_e32 v[30:31], v[9:10], v[3:4]
	v_add_f64_e64 v[32:33], v[1:2], -v[7:8]
	v_add_f64_e64 v[1:2], v[3:4], -v[9:10]
	s_wait_loadcnt 0x2
	s_delay_alu instid0(VALU_DEP_2) | instskip(NEXT) | instid1(VALU_DEP_2)
	v_fma_f64 v[3:4], v[32:33], v[14:15], v[28:29]
	v_fma_f64 v[7:8], v[30:31], v[14:15], v[1:2]
	v_fma_f64 v[9:10], -v[32:33], v[14:15], v[28:29]
	v_fma_f64 v[14:15], v[30:31], v[14:15], -v[1:2]
	s_delay_alu instid0(VALU_DEP_4) | instskip(NEXT) | instid1(VALU_DEP_4)
	v_fma_f64 v[1:2], -v[30:31], v[12:13], v[3:4]
	v_fma_f64 v[3:4], v[32:33], v[12:13], v[7:8]
	s_delay_alu instid0(VALU_DEP_4) | instskip(NEXT) | instid1(VALU_DEP_4)
	v_fma_f64 v[7:8], v[30:31], v[12:13], v[9:10]
	v_fma_f64 v[9:10], v[32:33], v[12:13], v[14:15]
	ds_store_b128 v48, v[1:4] offset:10240
	ds_store_b128 v11, v[7:10] offset:30720
	ds_load_b128 v[1:4], v48 offset:12288
	ds_load_b128 v[7:10], v11 offset:28672
	global_load_b128 v[12:15], v[5:6], off offset:16384
	s_wait_dscnt 0x0
	v_add_f64_e32 v[28:29], v[1:2], v[7:8]
	v_add_f64_e32 v[30:31], v[9:10], v[3:4]
	v_add_f64_e64 v[32:33], v[1:2], -v[7:8]
	v_add_f64_e64 v[1:2], v[3:4], -v[9:10]
	s_wait_loadcnt 0x2
	s_delay_alu instid0(VALU_DEP_2) | instskip(NEXT) | instid1(VALU_DEP_2)
	v_fma_f64 v[3:4], v[32:33], v[26:27], v[28:29]
	v_fma_f64 v[7:8], v[30:31], v[26:27], v[1:2]
	v_fma_f64 v[9:10], -v[32:33], v[26:27], v[28:29]
	v_fma_f64 v[26:27], v[30:31], v[26:27], -v[1:2]
	s_delay_alu instid0(VALU_DEP_4) | instskip(NEXT) | instid1(VALU_DEP_4)
	v_fma_f64 v[1:2], -v[30:31], v[24:25], v[3:4]
	v_fma_f64 v[3:4], v[32:33], v[24:25], v[7:8]
	s_delay_alu instid0(VALU_DEP_4) | instskip(NEXT) | instid1(VALU_DEP_4)
	v_fma_f64 v[7:8], v[30:31], v[24:25], v[9:10]
	v_fma_f64 v[9:10], v[32:33], v[24:25], v[26:27]
	ds_store_b128 v48, v[1:4] offset:12288
	ds_store_b128 v11, v[7:10] offset:28672
	ds_load_b128 v[1:4], v21
	ds_load_b128 v[7:10], v11 offset:26624
	global_load_b128 v[24:27], v[5:6], off offset:18432
	s_wait_dscnt 0x0
	v_add_f64_e32 v[5:6], v[1:2], v[7:8]
	v_add_f64_e32 v[28:29], v[9:10], v[3:4]
	v_add_f64_e64 v[7:8], v[1:2], -v[7:8]
	v_add_f64_e64 v[1:2], v[3:4], -v[9:10]
	s_wait_loadcnt 0x2
	s_delay_alu instid0(VALU_DEP_2) | instskip(NEXT) | instid1(VALU_DEP_2)
	v_fma_f64 v[3:4], v[7:8], v[18:19], v[5:6]
	v_fma_f64 v[9:10], v[28:29], v[18:19], v[1:2]
	v_fma_f64 v[5:6], -v[7:8], v[18:19], v[5:6]
	v_fma_f64 v[18:19], v[28:29], v[18:19], -v[1:2]
	s_delay_alu instid0(VALU_DEP_4) | instskip(NEXT) | instid1(VALU_DEP_4)
	v_fma_f64 v[1:2], -v[28:29], v[16:17], v[3:4]
	v_fma_f64 v[3:4], v[7:8], v[16:17], v[9:10]
	s_delay_alu instid0(VALU_DEP_4) | instskip(NEXT) | instid1(VALU_DEP_4)
	v_fma_f64 v[5:6], v[28:29], v[16:17], v[5:6]
	v_fma_f64 v[7:8], v[7:8], v[16:17], v[18:19]
	ds_store_b128 v21, v[1:4]
	ds_store_b128 v11, v[5:8] offset:26624
	ds_load_b128 v[1:4], v48 offset:16384
	ds_load_b128 v[5:8], v11 offset:24576
	v_or_b32_e32 v21, 0x80, v20
	s_wait_dscnt 0x0
	v_add_f64_e32 v[9:10], v[1:2], v[5:6]
	v_add_f64_e32 v[16:17], v[7:8], v[3:4]
	v_add_f64_e64 v[18:19], v[1:2], -v[5:6]
	v_add_f64_e64 v[1:2], v[3:4], -v[7:8]
	s_wait_loadcnt 0x1
	s_delay_alu instid0(VALU_DEP_2) | instskip(NEXT) | instid1(VALU_DEP_2)
	v_fma_f64 v[3:4], v[18:19], v[14:15], v[9:10]
	v_fma_f64 v[5:6], v[16:17], v[14:15], v[1:2]
	v_fma_f64 v[7:8], -v[18:19], v[14:15], v[9:10]
	v_fma_f64 v[9:10], v[16:17], v[14:15], -v[1:2]
	s_delay_alu instid0(VALU_DEP_4) | instskip(NEXT) | instid1(VALU_DEP_4)
	v_fma_f64 v[1:2], -v[16:17], v[12:13], v[3:4]
	v_fma_f64 v[3:4], v[18:19], v[12:13], v[5:6]
	s_delay_alu instid0(VALU_DEP_4) | instskip(NEXT) | instid1(VALU_DEP_4)
	v_fma_f64 v[5:6], v[16:17], v[12:13], v[7:8]
	v_fma_f64 v[7:8], v[18:19], v[12:13], v[9:10]
	ds_store_b128 v48, v[1:4] offset:16384
	ds_store_b128 v11, v[5:8] offset:24576
	ds_load_b128 v[1:4], v48 offset:18432
	ds_load_b128 v[5:8], v11 offset:22528
	s_wait_dscnt 0x0
	v_add_f64_e32 v[9:10], v[1:2], v[5:6]
	v_add_f64_e32 v[12:13], v[7:8], v[3:4]
	v_add_f64_e64 v[14:15], v[1:2], -v[5:6]
	v_add_f64_e64 v[1:2], v[3:4], -v[7:8]
	s_wait_loadcnt 0x0
	s_delay_alu instid0(VALU_DEP_2) | instskip(NEXT) | instid1(VALU_DEP_2)
	v_fma_f64 v[3:4], v[14:15], v[26:27], v[9:10]
	v_fma_f64 v[5:6], v[12:13], v[26:27], v[1:2]
	v_fma_f64 v[7:8], -v[14:15], v[26:27], v[9:10]
	v_fma_f64 v[9:10], v[12:13], v[26:27], -v[1:2]
	s_delay_alu instid0(VALU_DEP_4) | instskip(NEXT) | instid1(VALU_DEP_4)
	v_fma_f64 v[1:2], -v[12:13], v[24:25], v[3:4]
	v_fma_f64 v[3:4], v[14:15], v[24:25], v[5:6]
	s_delay_alu instid0(VALU_DEP_4) | instskip(NEXT) | instid1(VALU_DEP_4)
	v_fma_f64 v[5:6], v[12:13], v[24:25], v[7:8]
	v_fma_f64 v[7:8], v[14:15], v[24:25], v[9:10]
	ds_store_b128 v48, v[1:4] offset:18432
	ds_store_b128 v11, v[5:8] offset:22528
	global_wb scope:SCOPE_SE
	s_wait_dscnt 0x0
	s_barrier_signal -1
	s_barrier_wait -1
	global_inv scope:SCOPE_SE
	global_wb scope:SCOPE_SE
	s_barrier_signal -1
	s_barrier_wait -1
	global_inv scope:SCOPE_SE
	ds_load_b128 v[1:4], v48 offset:20480
	ds_load_b128 v[5:8], v48
	ds_load_b128 v[9:12], v48 offset:10240
	ds_load_b128 v[13:16], v48 offset:30720
	;; [unrolled: 1-line block ×18, first 2 shown]
	global_wb scope:SCOPE_SE
	s_wait_dscnt 0x0
	v_add_f64_e64 v[89:90], v[5:6], -v[1:2]
	v_add_f64_e64 v[91:92], v[7:8], -v[3:4]
	v_add_f64_e64 v[3:4], v[9:10], -v[13:14]
	v_add_f64_e64 v[1:2], v[11:12], -v[15:16]
	v_add_f64_e64 v[93:94], v[24:25], -v[28:29]
	v_add_f64_e64 v[95:96], v[26:27], -v[30:31]
	v_add_f64_e64 v[14:15], v[36:37], -v[32:33]
	v_add_f64_e64 v[16:17], v[38:39], -v[34:35]
	v_add_f64_e64 v[97:98], v[40:41], -v[44:45]
	v_add_f64_e64 v[99:100], v[42:43], -v[46:47]
	v_add_f64_e64 v[30:31], v[49:50], -v[53:54]
	v_add_f64_e64 v[28:29], v[51:52], -v[55:56]
	v_add_f64_e64 v[101:102], v[57:58], -v[61:62]
	v_add_f64_e64 v[103:104], v[59:60], -v[63:64]
	v_add_f64_e64 v[44:45], v[65:66], -v[69:70]
	v_add_f64_e64 v[46:47], v[67:68], -v[71:72]
	v_add_f64_e64 v[105:106], v[73:74], -v[77:78]
	v_add_f64_e64 v[107:108], v[75:76], -v[79:80]
	v_add_f64_e64 v[53:54], v[81:82], -v[85:86]
	v_add_f64_e64 v[55:56], v[83:84], -v[87:88]
	s_barrier_signal -1
	s_barrier_wait -1
	global_inv scope:SCOPE_SE
	v_fma_f64 v[5:6], v[5:6], 2.0, -v[89:90]
	v_fma_f64 v[7:8], v[7:8], 2.0, -v[91:92]
	;; [unrolled: 1-line block ×20, first 2 shown]
	v_add_f64_e32 v[1:2], v[89:90], v[1:2]
	v_add_f64_e64 v[3:4], v[91:92], -v[3:4]
	v_add_f64_e32 v[12:13], v[93:94], v[16:17]
	v_add_f64_e64 v[14:15], v[95:96], -v[14:15]
	v_add_f64_e32 v[28:29], v[97:98], v[28:29]
	v_add_f64_e64 v[30:31], v[99:100], -v[30:31]
	v_add_f64_e32 v[36:37], v[101:102], v[46:47]
	v_add_f64_e64 v[46:47], v[107:108], -v[53:54]
	v_or_b32_e32 v11, 0x200, v20
	v_add_f64_e64 v[16:17], v[5:6], -v[9:10]
	v_add_f64_e64 v[18:19], v[7:8], -v[18:19]
	v_or_b32_e32 v9, 0x100, v20
	v_or_b32_e32 v10, 0x180, v20
	v_add_f64_e64 v[24:25], v[69:70], -v[24:25]
	v_add_f64_e64 v[26:27], v[71:72], -v[26:27]
	;; [unrolled: 1-line block ×7, first 2 shown]
	v_add_f64_e32 v[44:45], v[105:106], v[55:56]
	v_add_f64_e64 v[49:50], v[109:110], -v[49:50]
	v_add_f64_e64 v[51:52], v[111:112], -v[51:52]
	v_fma_f64 v[53:54], v[89:90], 2.0, -v[1:2]
	v_fma_f64 v[55:56], v[91:92], 2.0, -v[3:4]
	;; [unrolled: 1-line block ×4, first 2 shown]
	v_lshl_add_u32 v93, v9, 6, 0
	v_lshl_add_u32 v94, v10, 6, 0
	;; [unrolled: 1-line block ×3, first 2 shown]
	v_fma_f64 v[61:62], v[5:6], 2.0, -v[16:17]
	v_fma_f64 v[63:64], v[7:8], 2.0, -v[18:19]
	v_and_b32_e32 v8, 3, v0
	v_mad_u32_u24 v5, v20, 48, v48
	v_fma_f64 v[65:66], v[69:70], 2.0, -v[24:25]
	v_fma_f64 v[67:68], v[71:72], 2.0, -v[26:27]
	;; [unrolled: 1-line block ×7, first 2 shown]
	v_mul_u32_u24_e32 v6, 3, v8
	v_fma_f64 v[81:82], v[85:86], 2.0, -v[40:41]
	v_fma_f64 v[83:84], v[87:88], 2.0, -v[42:43]
	;; [unrolled: 1-line block ×7, first 2 shown]
	v_lshlrev_b32_e32 v6, 4, v6
	v_lshl_add_u32 v7, v21, 6, 0
	ds_store_b128 v5, v[1:4] offset:48
	ds_store_b128 v5, v[16:19] offset:32
	;; [unrolled: 1-line block ×3, first 2 shown]
	ds_store_b128 v5, v[61:64]
	ds_store_b128 v7, v[65:68]
	ds_store_b128 v7, v[57:60] offset:16
	ds_store_b128 v7, v[24:27] offset:32
	ds_store_b128 v7, v[12:15] offset:48
	ds_store_b128 v93, v[73:76]
	ds_store_b128 v93, v[69:72] offset:16
	ds_store_b128 v93, v[32:35] offset:32
	ds_store_b128 v93, v[28:31] offset:48
	;; [unrolled: 4-line block ×4, first 2 shown]
	global_wb scope:SCOPE_SE
	s_wait_dscnt 0x0
	s_barrier_signal -1
	s_barrier_wait -1
	global_inv scope:SCOPE_SE
	s_clause 0x2
	global_load_b128 v[1:4], v6, s[4:5]
	global_load_b128 v[12:15], v6, s[4:5] offset:16
	global_load_b128 v[16:19], v6, s[4:5] offset:32
	ds_load_b128 v[24:27], v48 offset:10240
	ds_load_b128 v[28:31], v48 offset:12288
	;; [unrolled: 1-line block ×16, first 2 shown]
	v_lshlrev_b32_e32 v7, 2, v21
	v_lshrrev_b32_e32 v21, 6, v21
	s_delay_alu instid0(VALU_DEP_1)
	v_mul_u32_u24_e32 v21, 0x280, v21
	s_wait_loadcnt_dscnt 0x20f
	v_mul_f64_e32 v[5:6], v[26:27], v[3:4]
	v_mul_f64_e32 v[89:90], v[24:25], v[3:4]
	s_wait_dscnt 0xe
	v_mul_f64_e32 v[91:92], v[30:31], v[3:4]
	v_mul_f64_e32 v[93:94], v[28:29], v[3:4]
	s_wait_dscnt 0xd
	;; [unrolled: 3-line block ×4, first 2 shown]
	v_mul_f64_e32 v[103:104], v[42:43], v[3:4]
	v_mul_f64_e32 v[3:4], v[40:41], v[3:4]
	s_wait_loadcnt_dscnt 0x109
	v_mul_f64_e32 v[105:106], v[51:52], v[14:15]
	v_mul_f64_e32 v[107:108], v[49:50], v[14:15]
	s_wait_loadcnt_dscnt 0x8
	v_mul_f64_e32 v[109:110], v[55:56], v[18:19]
	v_mul_f64_e32 v[111:112], v[53:54], v[18:19]
	s_wait_dscnt 0x7
	v_mul_f64_e32 v[113:114], v[59:60], v[14:15]
	v_mul_f64_e32 v[115:116], v[57:58], v[14:15]
	s_wait_dscnt 0x6
	;; [unrolled: 3-line block ×6, first 2 shown]
	v_mul_f64_e32 v[133:134], v[83:84], v[18:19]
	v_mul_f64_e32 v[135:136], v[81:82], v[18:19]
	;; [unrolled: 1-line block ×4, first 2 shown]
	v_fma_f64 v[5:6], v[24:25], v[1:2], v[5:6]
	s_wait_dscnt 0x0
	v_mul_f64_e32 v[24:25], v[87:88], v[18:19]
	v_mul_f64_e32 v[18:19], v[85:86], v[18:19]
	v_fma_f64 v[89:90], v[26:27], v[1:2], -v[89:90]
	v_fma_f64 v[91:92], v[28:29], v[1:2], v[91:92]
	v_fma_f64 v[93:94], v[30:31], v[1:2], -v[93:94]
	v_fma_f64 v[32:33], v[32:33], v[1:2], v[95:96]
	;; [unrolled: 2-line block ×13, first 2 shown]
	v_fma_f64 v[75:76], v[75:76], v[12:13], -v[14:15]
	ds_load_b128 v[12:15], v48
	v_fma_f64 v[81:82], v[85:86], v[16:17], v[24:25]
	v_fma_f64 v[83:84], v[87:88], v[16:17], -v[18:19]
	ds_load_b128 v[16:19], v48 offset:2048
	ds_load_b128 v[24:27], v48 offset:4096
	;; [unrolled: 1-line block ×3, first 2 shown]
	global_wb scope:SCOPE_SE
	s_wait_dscnt 0x0
	s_barrier_signal -1
	s_barrier_wait -1
	global_inv scope:SCOPE_SE
	v_add_f64_e64 v[1:2], v[12:13], -v[1:2]
	v_add_f64_e64 v[3:4], v[14:15], -v[3:4]
	;; [unrolled: 1-line block ×20, first 2 shown]
	v_fma_f64 v[77:78], v[12:13], 2.0, -v[1:2]
	v_fma_f64 v[79:80], v[14:15], 2.0, -v[3:4]
	;; [unrolled: 1-line block ×4, first 2 shown]
	v_add_f64_e32 v[12:13], v[1:2], v[51:52]
	v_add_f64_e64 v[14:15], v[3:4], -v[49:50]
	v_fma_f64 v[83:84], v[16:17], 2.0, -v[85:86]
	v_fma_f64 v[89:90], v[18:19], 2.0, -v[87:88]
	;; [unrolled: 1-line block ×14, first 2 shown]
	v_add_f64_e32 v[16:17], v[85:86], v[55:56]
	v_add_f64_e64 v[18:19], v[87:88], -v[53:54]
	v_add_f64_e32 v[24:25], v[95:96], v[59:60]
	v_add_f64_e64 v[26:27], v[97:98], -v[57:58]
	v_fma_f64 v[119:120], v[40:41], 2.0, -v[65:66]
	v_fma_f64 v[121:122], v[42:43], 2.0, -v[67:68]
	v_add_f64_e32 v[28:29], v[69:70], v[63:64]
	v_add_f64_e64 v[30:31], v[71:72], -v[61:62]
	v_add_f64_e32 v[32:33], v[73:74], v[67:68]
	v_add_f64_e64 v[34:35], v[75:76], -v[65:66]
	v_add_f64_e64 v[36:37], v[77:78], -v[5:6]
	;; [unrolled: 1-line block ×3, first 2 shown]
	v_fma_f64 v[57:58], v[1:2], 2.0, -v[12:13]
	v_fma_f64 v[59:60], v[3:4], 2.0, -v[14:15]
	v_lshlrev_b32_e32 v5, 2, v20
	v_and_b32_e32 v6, 15, v0
	v_lshlrev_b32_e32 v1, 2, v9
	v_lshlrev_b32_e32 v2, 2, v10
	;; [unrolled: 1-line block ×3, first 2 shown]
	v_add_f64_e64 v[40:41], v[83:84], -v[91:92]
	v_add_f64_e64 v[42:43], v[89:90], -v[93:94]
	v_mul_u32_u24_e32 v4, 3, v6
	v_and_or_b32 v10, 0x3f0, v7, v8
	v_add_f64_e64 v[44:45], v[99:100], -v[103:104]
	v_add_f64_e64 v[46:47], v[101:102], -v[105:106]
	v_and_or_b32 v103, 0x1f0, v5, v8
	v_and_or_b32 v11, 0x5f0, v1, v8
	v_add_f64_e64 v[49:50], v[107:108], -v[111:112]
	v_add_f64_e64 v[51:52], v[109:110], -v[113:114]
	v_lshlrev_b32_e32 v4, 4, v4
	v_lshl_add_u32 v9, v103, 4, 0
	v_fma_f64 v[61:62], v[85:86], 2.0, -v[16:17]
	v_fma_f64 v[63:64], v[87:88], 2.0, -v[18:19]
	;; [unrolled: 1-line block ×4, first 2 shown]
	v_add_f64_e64 v[53:54], v[115:116], -v[119:120]
	v_add_f64_e64 v[55:56], v[117:118], -v[121:122]
	v_fma_f64 v[69:70], v[69:70], 2.0, -v[28:29]
	v_fma_f64 v[71:72], v[71:72], 2.0, -v[30:31]
	;; [unrolled: 1-line block ×4, first 2 shown]
	v_and_or_b32 v97, 0x7f0, v2, v8
	v_and_or_b32 v8, 0x9f0, v3, v8
	v_lshl_add_u32 v10, v10, 4, 0
	v_lshl_add_u32 v11, v11, 4, 0
	v_and_or_b32 v1, 0x5c0, v1, v6
	v_lshl_add_u32 v97, v97, 4, 0
	v_lshl_add_u32 v8, v8, 4, 0
	v_fma_f64 v[77:78], v[77:78], 2.0, -v[36:37]
	v_fma_f64 v[79:80], v[79:80], 2.0, -v[38:39]
	v_and_or_b32 v2, 0x7c0, v2, v6
	v_and_or_b32 v3, 0x9c0, v3, v6
	v_lshl_add_u32 v1, v1, 4, 0
	s_delay_alu instid0(VALU_DEP_3) | instskip(NEXT) | instid1(VALU_DEP_3)
	v_lshl_add_u32 v2, v2, 4, 0
	v_lshl_add_u32 v3, v3, 4, 0
	v_fma_f64 v[81:82], v[83:84], 2.0, -v[40:41]
	v_fma_f64 v[83:84], v[89:90], 2.0, -v[42:43]
	;; [unrolled: 1-line block ×8, first 2 shown]
	ds_store_b128 v9, v[12:15] offset:192
	ds_store_b128 v9, v[36:39] offset:128
	;; [unrolled: 1-line block ×11, first 2 shown]
	ds_store_b128 v9, v[77:80]
	ds_store_b128 v10, v[61:64] offset:64
	ds_store_b128 v10, v[81:84]
	ds_store_b128 v11, v[65:68] offset:64
	;; [unrolled: 2-line block ×4, first 2 shown]
	ds_store_b128 v8, v[93:96]
	global_wb scope:SCOPE_SE
	s_wait_dscnt 0x0
	s_barrier_signal -1
	s_barrier_wait -1
	global_inv scope:SCOPE_SE
	s_clause 0x2
	global_load_b128 v[8:11], v4, s[4:5] offset:192
	global_load_b128 v[12:15], v4, s[4:5] offset:208
	;; [unrolled: 1-line block ×3, first 2 shown]
	ds_load_b128 v[24:27], v48 offset:10240
	ds_load_b128 v[28:31], v48 offset:20480
	;; [unrolled: 1-line block ×16, first 2 shown]
	s_wait_loadcnt_dscnt 0x20f
	v_mul_f64_e32 v[89:90], v[26:27], v[10:11]
	v_mul_f64_e32 v[91:92], v[24:25], v[10:11]
	s_wait_loadcnt_dscnt 0x10e
	v_mul_f64_e32 v[93:94], v[30:31], v[14:15]
	v_mul_f64_e32 v[95:96], v[28:29], v[14:15]
	;; [unrolled: 3-line block ×3, first 2 shown]
	v_mul_f64_e32 v[97:98], v[34:35], v[10:11]
	v_mul_f64_e32 v[99:100], v[32:33], v[10:11]
	;; [unrolled: 1-line block ×4, first 2 shown]
	s_wait_dscnt 0x6
	v_mul_f64_e32 v[121:122], v[63:64], v[18:19]
	v_mul_f64_e32 v[123:124], v[61:62], v[18:19]
	;; [unrolled: 1-line block ×6, first 2 shown]
	s_wait_dscnt 0x2
	v_mul_f64_e32 v[133:134], v[79:80], v[18:19]
	v_mul_f64_e32 v[135:136], v[77:78], v[18:19]
	;; [unrolled: 1-line block ×10, first 2 shown]
	v_fma_f64 v[89:90], v[24:25], v[8:9], v[89:90]
	v_fma_f64 v[91:92], v[26:27], v[8:9], -v[91:92]
	s_wait_dscnt 0x1
	v_mul_f64_e32 v[24:25], v[83:84], v[18:19]
	v_mul_f64_e32 v[26:27], v[81:82], v[18:19]
	v_fma_f64 v[28:29], v[28:29], v[12:13], v[93:94]
	s_wait_dscnt 0x0
	v_mul_f64_e32 v[93:94], v[87:88], v[18:19]
	v_mul_f64_e32 v[18:19], v[85:86], v[18:19]
	v_fma_f64 v[30:31], v[30:31], v[12:13], -v[95:96]
	v_fma_f64 v[57:58], v[57:58], v[16:17], v[117:118]
	v_fma_f64 v[59:60], v[59:60], v[16:17], -v[119:120]
	v_fma_f64 v[32:33], v[32:33], v[8:9], v[97:98]
	;; [unrolled: 2-line block ×11, first 2 shown]
	v_fma_f64 v[75:76], v[75:76], v[12:13], -v[14:15]
	ds_load_b128 v[8:11], v48
	v_fma_f64 v[81:82], v[81:82], v[16:17], v[24:25]
	v_fma_f64 v[83:84], v[83:84], v[16:17], -v[26:27]
	v_fma_f64 v[85:86], v[85:86], v[16:17], v[93:94]
	v_fma_f64 v[87:88], v[87:88], v[16:17], -v[18:19]
	ds_load_b128 v[12:15], v48 offset:2048
	ds_load_b128 v[16:19], v48 offset:4096
	;; [unrolled: 1-line block ×3, first 2 shown]
	global_wb scope:SCOPE_SE
	s_wait_dscnt 0x0
	s_barrier_signal -1
	s_barrier_wait -1
	global_inv scope:SCOPE_SE
	v_add_f64_e64 v[93:94], v[8:9], -v[28:29]
	v_add_f64_e64 v[95:96], v[10:11], -v[30:31]
	;; [unrolled: 1-line block ×20, first 2 shown]
	v_fma_f64 v[83:84], v[8:9], 2.0, -v[93:94]
	v_fma_f64 v[85:86], v[10:11], 2.0, -v[95:96]
	;; [unrolled: 1-line block ×4, first 2 shown]
	v_add_f64_e32 v[8:9], v[93:94], v[30:31]
	v_add_f64_e64 v[10:11], v[95:96], -v[28:29]
	v_fma_f64 v[91:92], v[12:13], 2.0, -v[58:59]
	v_fma_f64 v[101:102], v[14:15], 2.0, -v[97:98]
	;; [unrolled: 1-line block ×12, first 2 shown]
	v_add_f64_e32 v[12:13], v[58:59], v[38:39]
	v_add_f64_e64 v[14:15], v[97:98], -v[36:37]
	v_add_f64_e32 v[16:17], v[62:63], v[51:52]
	v_fma_f64 v[53:54], v[53:54], 2.0, -v[60:61]
	v_fma_f64 v[55:56], v[55:56], 2.0, -v[64:65]
	v_add_f64_e32 v[24:25], v[77:78], v[64:65]
	v_fma_f64 v[68:69], v[69:70], 2.0, -v[66:67]
	v_fma_f64 v[70:71], v[71:72], 2.0, -v[81:82]
	v_add_f64_e32 v[28:29], v[73:74], v[81:82]
	v_add_f64_e64 v[30:31], v[75:76], -v[66:67]
	v_add_f64_e64 v[26:27], v[79:80], -v[60:61]
	;; [unrolled: 1-line block ×3, first 2 shown]
	v_and_b32_e32 v49, 63, v0
	v_and_or_b32 v0, 0x1c0, v5, v6
	v_and_or_b32 v5, 0x3c0, v7, v6
	v_add_f64_e64 v[32:33], v[83:84], -v[87:88]
	v_add_f64_e64 v[34:35], v[85:86], -v[89:90]
	v_mul_u32_u24_e32 v4, 9, v49
	v_lshl_add_u32 v0, v0, 4, 0
	v_or_b32_e32 v21, v21, v49
	s_delay_alu instid0(VALU_DEP_1)
	v_lshl_add_u32 v21, v21, 4, 0
	v_add_f64_e64 v[36:37], v[91:92], -v[103:104]
	v_add_f64_e64 v[38:39], v[101:102], -v[105:106]
	;; [unrolled: 1-line block ×4, first 2 shown]
	v_fma_f64 v[58:59], v[58:59], 2.0, -v[12:13]
	v_fma_f64 v[60:61], v[97:98], 2.0, -v[14:15]
	;; [unrolled: 1-line block ×3, first 2 shown]
	v_add_f64_e64 v[44:45], v[111:112], -v[53:54]
	v_add_f64_e64 v[46:47], v[113:114], -v[55:56]
	v_fma_f64 v[54:55], v[93:94], 2.0, -v[8:9]
	v_add_f64_e64 v[50:51], v[115:116], -v[68:69]
	v_add_f64_e64 v[52:53], v[117:118], -v[70:71]
	v_fma_f64 v[56:57], v[95:96], 2.0, -v[10:11]
	v_fma_f64 v[66:67], v[77:78], 2.0, -v[24:25]
	;; [unrolled: 1-line block ×6, first 2 shown]
	v_lshlrev_b32_e32 v94, 4, v4
	v_fma_f64 v[74:75], v[83:84], 2.0, -v[32:33]
	v_fma_f64 v[76:77], v[85:86], 2.0, -v[34:35]
	v_lshl_add_u32 v4, v5, 4, 0
	v_fma_f64 v[78:79], v[91:92], 2.0, -v[36:37]
	v_fma_f64 v[80:81], v[101:102], 2.0, -v[38:39]
	;; [unrolled: 1-line block ×8, first 2 shown]
	ds_store_b128 v0, v[8:11] offset:768
	ds_store_b128 v0, v[32:35] offset:512
	;; [unrolled: 1-line block ×11, first 2 shown]
	ds_store_b128 v0, v[74:77]
	ds_store_b128 v4, v[58:61] offset:256
	ds_store_b128 v4, v[78:81]
	ds_store_b128 v1, v[62:65] offset:256
	;; [unrolled: 2-line block ×4, first 2 shown]
	ds_store_b128 v3, v[90:93]
	global_wb scope:SCOPE_SE
	s_wait_dscnt 0x0
	s_barrier_signal -1
	s_barrier_wait -1
	global_inv scope:SCOPE_SE
	s_clause 0x8
	global_load_b128 v[26:29], v94, s[4:5] offset:976
	global_load_b128 v[30:33], v94, s[4:5] offset:1008
	;; [unrolled: 1-line block ×9, first 2 shown]
	ds_load_b128 v[44:47], v48 offset:8192
	ds_load_b128 v[50:53], v48 offset:10240
	;; [unrolled: 1-line block ×17, first 2 shown]
	s_wait_loadcnt_dscnt 0x810
	v_mul_f64_e32 v[24:25], v[46:47], v[28:29]
	v_mul_f64_e32 v[34:35], v[44:45], v[28:29]
	s_wait_dscnt 0xf
	v_mul_f64_e32 v[114:115], v[52:53], v[28:29]
	v_mul_f64_e32 v[116:117], v[50:51], v[28:29]
	s_wait_loadcnt_dscnt 0x70e
	v_mul_f64_e32 v[118:119], v[56:57], v[32:33]
	v_mul_f64_e32 v[120:121], v[54:55], v[32:33]
	s_wait_dscnt 0xd
	v_mul_f64_e32 v[122:123], v[60:61], v[32:33]
	v_mul_f64_e32 v[32:33], v[58:59], v[32:33]
	;; [unrolled: 6-line block ×4, first 2 shown]
	s_wait_loadcnt_dscnt 0x307
	v_mul_f64_e32 v[138:139], v[84:85], v[10:11]
	s_wait_dscnt 0x1
	v_mul_f64_e32 v[140:141], v[108:109], v[10:11]
	v_fma_f64 v[28:29], v[44:45], v[26:27], v[24:25]
	v_fma_f64 v[34:35], v[46:47], v[26:27], -v[34:35]
	v_fma_f64 v[24:25], v[50:51], v[26:27], v[114:115]
	v_fma_f64 v[26:27], v[52:53], v[26:27], -v[116:117]
	v_mul_f64_e32 v[114:115], v[80:81], v[14:15]
	v_mul_f64_e32 v[116:117], v[78:79], v[14:15]
	v_fma_f64 v[118:119], v[54:55], v[30:31], v[118:119]
	v_fma_f64 v[44:45], v[56:57], v[30:31], -v[120:121]
	s_wait_loadcnt 0x2
	v_mul_f64_e32 v[54:55], v[88:89], v[6:7]
	s_wait_loadcnt 0x1
	v_mul_f64_e32 v[56:57], v[92:93], v[2:3]
	v_fma_f64 v[46:47], v[58:59], v[30:31], v[122:123]
	v_fma_f64 v[32:33], v[60:61], v[30:31], -v[32:33]
	v_mul_f64_e32 v[58:59], v[82:83], v[10:11]
	v_mul_f64_e32 v[60:61], v[86:87], v[6:7]
	;; [unrolled: 1-line block ×3, first 2 shown]
	ds_load_b128 v[50:53], v48 offset:38912
	s_wait_loadcnt 0x0
	v_mul_f64_e32 v[122:123], v[96:97], v[18:19]
	v_fma_f64 v[62:63], v[62:63], v[36:37], v[124:125]
	v_fma_f64 v[64:65], v[64:65], v[36:37], -v[126:127]
	v_mul_f64_e32 v[124:125], v[94:95], v[18:19]
	v_mul_f64_e32 v[126:127], v[100:101], v[18:19]
	v_fma_f64 v[42:43], v[66:67], v[36:37], v[128:129]
	v_fma_f64 v[36:37], v[68:69], v[36:37], -v[38:39]
	v_mul_f64_e32 v[66:67], v[98:99], v[18:19]
	v_mul_f64_e32 v[68:69], v[104:105], v[14:15]
	;; [unrolled: 1-line block ×3, first 2 shown]
	v_fma_f64 v[30:31], v[70:71], v[40:41], v[130:131]
	v_fma_f64 v[18:19], v[72:73], v[40:41], -v[132:133]
	v_mul_f64_e32 v[70:71], v[106:107], v[10:11]
	s_wait_dscnt 0x1
	v_mul_f64_e32 v[72:73], v[112:113], v[6:7]
	v_fma_f64 v[10:11], v[74:75], v[40:41], v[134:135]
	v_fma_f64 v[14:15], v[76:77], v[40:41], -v[136:137]
	v_mul_f64_e32 v[74:75], v[110:111], v[6:7]
	v_fma_f64 v[76:77], v[82:83], v[8:9], v[138:139]
	v_fma_f64 v[6:7], v[78:79], v[12:13], v[114:115]
	v_fma_f64 v[80:81], v[80:81], v[12:13], -v[116:117]
	v_add_f64_e64 v[114:115], v[34:35], -v[44:45]
	v_fma_f64 v[78:79], v[86:87], v[4:5], v[54:55]
	v_fma_f64 v[38:39], v[90:91], v[0:1], v[56:57]
	s_wait_dscnt 0x0
	v_mul_f64_e32 v[86:87], v[52:53], v[2:3]
	v_mul_f64_e32 v[2:3], v[50:51], v[2:3]
	v_fma_f64 v[82:83], v[84:85], v[8:9], -v[58:59]
	v_fma_f64 v[84:85], v[88:89], v[4:5], -v[60:61]
	;; [unrolled: 1-line block ×3, first 2 shown]
	v_add_f64_e64 v[120:121], v[44:45], -v[34:35]
	v_fma_f64 v[88:89], v[94:95], v[16:17], v[122:123]
	v_add_f64_e32 v[94:95], v[118:119], v[62:63]
	ds_load_b128 v[54:57], v48
	ds_load_b128 v[58:61], v48 offset:2048
	v_fma_f64 v[90:91], v[96:97], v[16:17], -v[124:125]
	v_fma_f64 v[92:93], v[98:99], v[16:17], v[126:127]
	v_add_f64_e32 v[98:99], v[44:45], v[64:65]
	global_wb scope:SCOPE_SE
	s_wait_dscnt 0x0
	v_fma_f64 v[16:17], v[100:101], v[16:17], -v[66:67]
	v_fma_f64 v[66:67], v[102:103], v[12:13], v[68:69]
	v_fma_f64 v[12:13], v[104:105], v[12:13], -v[128:129]
	v_fma_f64 v[68:69], v[106:107], v[8:9], v[140:141]
	v_add_f64_e32 v[96:97], v[28:29], v[30:31]
	v_add_f64_e32 v[100:101], v[34:35], v[18:19]
	v_fma_f64 v[8:9], v[108:109], v[8:9], -v[70:71]
	v_fma_f64 v[70:71], v[110:111], v[4:5], v[72:73]
	v_add_f64_e32 v[72:73], v[46:47], v[42:43]
	v_add_f64_e32 v[102:103], v[24:25], v[10:11]
	;; [unrolled: 1-line block ×4, first 2 shown]
	v_fma_f64 v[4:5], v[112:113], v[4:5], -v[74:75]
	v_add_f64_e64 v[74:75], v[28:29], -v[118:119]
	v_add_f64_e64 v[108:109], v[30:31], -v[62:63]
	;; [unrolled: 1-line block ×8, first 2 shown]
	v_add_f64_e32 v[136:137], v[60:61], v[26:27]
	s_barrier_signal -1
	s_barrier_wait -1
	v_add_f64_e64 v[126:127], v[38:39], -v[78:79]
	v_add_f64_e64 v[130:131], v[78:79], -v[38:39]
	v_fma_f64 v[50:51], v[50:51], v[0:1], v[86:87]
	v_add_f64_e64 v[132:133], v[80:81], -v[82:83]
	v_fma_f64 v[0:1], v[52:53], v[0:1], -v[2:3]
	v_add_f64_e64 v[134:135], v[40:41], -v[84:85]
	v_add_f64_e32 v[2:3], v[54:55], v[28:29]
	v_add_f64_e32 v[52:53], v[56:57], v[34:35]
	;; [unrolled: 1-line block ×3, first 2 shown]
	v_add_f64_e64 v[138:139], v[82:83], -v[80:81]
	v_fma_f64 v[94:95], v[94:95], -0.5, v[54:55]
	v_add_f64_e64 v[34:35], v[34:35], -v[18:19]
	v_add_f64_e64 v[28:29], v[28:29], -v[30:31]
	global_inv scope:SCOPE_SE
	v_fma_f64 v[54:55], v[96:97], -0.5, v[54:55]
	v_fma_f64 v[96:97], v[98:99], -0.5, v[56:57]
	v_fma_f64 v[56:57], v[100:101], -0.5, v[56:57]
	v_add_f64_e64 v[98:99], v[84:85], -v[40:41]
	v_add_f64_e64 v[100:101], v[24:25], -v[46:47]
	v_fma_f64 v[72:73], v[72:73], -0.5, v[58:59]
	v_fma_f64 v[58:59], v[102:103], -0.5, v[58:59]
	;; [unrolled: 1-line block ×4, first 2 shown]
	v_add_f64_e64 v[104:105], v[10:11], -v[42:43]
	v_add_f64_e64 v[106:107], v[46:47], -v[24:25]
	v_add_f64_e32 v[74:75], v[74:75], v[108:109]
	v_add_f64_e64 v[108:109], v[42:43], -v[10:11]
	v_add_f64_e32 v[110:111], v[110:111], v[112:113]
	;; [unrolled: 2-line block ×5, first 2 shown]
	v_add_f64_e32 v[124:125], v[124:125], v[126:127]
	v_add_f64_e64 v[126:127], v[36:37], -v[14:15]
	v_add_f64_e32 v[128:129], v[128:129], v[130:131]
	v_add_f64_e64 v[130:131], v[66:67], -v[68:69]
	v_add_f64_e64 v[32:33], v[32:33], -v[36:37]
	v_add_f64_e32 v[132:133], v[132:133], v[134:135]
	v_add_f64_e64 v[134:135], v[50:51], -v[70:71]
	v_add_f64_e32 v[2:3], v[2:3], v[118:119]
	;; [unrolled: 2-line block ×3, first 2 shown]
	v_add_f64_e32 v[86:87], v[86:87], v[46:47]
	v_add_f64_e64 v[44:45], v[44:45], -v[64:65]
	v_add_f64_e64 v[46:47], v[46:47], -v[42:43]
	v_add_f64_e64 v[26:27], v[26:27], -v[14:15]
	v_add_f64_e64 v[24:25], v[24:25], -v[10:11]
	v_add_f64_e32 v[98:99], v[138:139], v[98:99]
	v_add_f64_e64 v[138:139], v[68:69], -v[66:67]
	v_add_f64_e32 v[100:101], v[100:101], v[104:105]
	v_add_f64_e64 v[104:105], v[70:71], -v[50:51]
	;; [unrolled: 2-line block ×4, first 2 shown]
	v_add_f64_e32 v[36:37], v[136:137], v[36:37]
	v_fma_f64 v[136:137], v[34:35], s[6:7], v[94:95]
	v_add_f64_e32 v[122:123], v[122:123], v[126:127]
	v_add_f64_e64 v[126:127], v[8:9], -v[12:13]
	s_wait_alu 0xfffe
	v_fma_f64 v[94:95], v[34:35], s[0:1], v[94:95]
	v_add_f64_e32 v[130:131], v[130:131], v[134:135]
	v_add_f64_e64 v[134:135], v[4:5], -v[0:1]
	v_add_f64_e32 v[2:3], v[2:3], v[62:63]
	v_add_f64_e32 v[62:63], v[80:81], v[40:41]
	;; [unrolled: 1-line block ×11, first 2 shown]
	v_fma_f64 v[136:137], v[44:45], s[10:11], v[136:137]
	v_add_f64_e32 v[126:127], v[126:127], v[134:135]
	v_add_f64_e32 v[134:135], v[82:83], v[84:85]
	v_fma_f64 v[62:63], v[62:63], -0.5, v[90:91]
	v_add_f64_e32 v[30:31], v[2:3], v[30:31]
	v_fma_f64 v[64:65], v[64:65], -0.5, v[92:93]
	v_fma_f64 v[2:3], v[44:45], s[0:1], v[54:55]
	v_fma_f64 v[86:87], v[86:87], -0.5, v[16:17]
	v_fma_f64 v[54:55], v[44:45], s[6:7], v[54:55]
	v_fma_f64 v[44:45], v[44:45], s[2:3], v[94:95]
	v_add_f64_e32 v[18:19], v[52:53], v[18:19]
	v_add_f64_e32 v[42:43], v[42:43], v[10:11]
	v_fma_f64 v[138:139], v[138:139], -0.5, v[88:89]
	v_fma_f64 v[116:117], v[116:117], -0.5, v[88:89]
	v_add_f64_e32 v[88:89], v[88:89], v[6:7]
	v_add_f64_e64 v[6:7], v[6:7], -v[38:39]
	v_fma_f64 v[134:135], v[134:135], -0.5, v[90:91]
	v_add_f64_e32 v[90:91], v[90:91], v[80:81]
	v_add_f64_e64 v[80:81], v[80:81], -v[40:41]
	v_fma_f64 v[2:3], v[34:35], s[10:11], v[2:3]
	v_fma_f64 v[34:35], v[34:35], s[2:3], v[54:55]
	v_add_f64_e32 v[88:89], v[88:89], v[76:77]
	v_add_f64_e64 v[76:77], v[76:77], -v[78:79]
	v_fma_f64 v[94:95], v[6:7], s[0:1], v[134:135]
	v_add_f64_e32 v[90:91], v[90:91], v[82:83]
	v_add_f64_e64 v[82:83], v[82:83], -v[84:85]
	v_fma_f64 v[134:135], v[6:7], s[6:7], v[134:135]
	v_add_f64_e32 v[78:79], v[88:89], v[78:79]
	v_add_f64_e32 v[88:89], v[66:67], v[50:51]
	v_fma_f64 v[94:95], v[76:77], s[2:3], v[94:95]
	v_add_f64_e32 v[84:85], v[90:91], v[84:85]
	v_add_f64_e32 v[90:91], v[8:9], v[4:5]
	;; [unrolled: 1-line block ×3, first 2 shown]
	v_fma_f64 v[88:89], v[88:89], -0.5, v[92:93]
	v_add_f64_e32 v[92:93], v[92:93], v[66:67]
	v_add_f64_e64 v[66:67], v[66:67], -v[50:51]
	v_fma_f64 v[78:79], v[110:111], s[12:13], v[34:35]
	v_fma_f64 v[94:95], v[132:133], s[12:13], v[94:95]
	v_add_f64_e32 v[40:41], v[84:85], v[40:41]
	v_fma_f64 v[90:91], v[90:91], -0.5, v[16:17]
	v_add_f64_e32 v[16:17], v[16:17], v[12:13]
	v_add_f64_e64 v[12:13], v[12:13], -v[0:1]
	v_add_f64_e32 v[92:93], v[92:93], v[68:69]
	v_add_f64_e64 v[68:69], v[68:69], -v[70:71]
	s_delay_alu instid0(VALU_DEP_4) | instskip(SKIP_1) | instid1(VALU_DEP_4)
	v_add_f64_e32 v[16:17], v[16:17], v[8:9]
	v_add_f64_e64 v[8:9], v[8:9], -v[4:5]
	v_add_f64_e32 v[70:71], v[92:93], v[70:71]
	v_fma_f64 v[92:93], v[80:81], s[6:7], v[138:139]
	v_fma_f64 v[138:139], v[80:81], s[0:1], v[138:139]
	v_add_f64_e32 v[4:5], v[16:17], v[4:5]
	v_fma_f64 v[16:17], v[82:83], s[0:1], v[116:117]
	v_fma_f64 v[116:117], v[82:83], s[6:7], v[116:117]
	;; [unrolled: 3-line block ×3, first 2 shown]
	v_fma_f64 v[138:139], v[76:77], s[6:7], v[62:63]
	v_fma_f64 v[62:63], v[76:77], s[0:1], v[62:63]
	;; [unrolled: 1-line block ×12, first 2 shown]
	v_add_f64_e32 v[50:51], v[4:5], v[0:1]
	v_add_f64_e32 v[0:1], v[30:31], v[38:39]
	;; [unrolled: 1-line block ×3, first 2 shown]
	v_add_f64_e64 v[4:5], v[30:31], -v[38:39]
	v_fma_f64 v[82:83], v[124:125], s[12:13], v[82:83]
	v_fma_f64 v[138:139], v[6:7], s[2:3], v[138:139]
	;; [unrolled: 1-line block ×18, first 2 shown]
	v_add_f64_e32 v[10:11], v[14:15], v[50:51]
	v_add_f64_e64 v[14:15], v[14:15], -v[50:51]
	v_fma_f64 v[138:139], v[98:99], s[12:13], v[138:139]
	v_fma_f64 v[6:7], v[98:99], s[12:13], v[6:7]
	v_fma_f64 v[62:63], v[8:9], s[10:11], v[62:63]
	v_fma_f64 v[8:9], v[8:9], s[2:3], v[64:65]
	v_fma_f64 v[64:65], v[118:119], s[6:7], v[56:57]
	v_fma_f64 v[56:57], v[118:119], s[0:1], v[56:57]
	v_fma_f64 v[98:99], v[32:33], s[0:1], v[58:59]
	v_fma_f64 v[58:59], v[32:33], s[6:7], v[58:59]
	v_fma_f64 v[134:135], v[108:109], s[12:13], v[134:135]
	v_fma_f64 v[68:69], v[108:109], s[12:13], v[68:69]
	v_fma_f64 v[116:117], v[126:127], s[12:13], v[116:117]
	v_fma_f64 v[66:67], v[126:127], s[12:13], v[66:67]
	v_fma_f64 v[86:87], v[12:13], s[10:11], v[86:87]
	v_fma_f64 v[12:13], v[12:13], s[2:3], v[88:89]
	v_fma_f64 v[88:89], v[26:27], s[6:7], v[72:73]
	v_fma_f64 v[72:73], v[26:27], s[0:1], v[72:73]
	v_fma_f64 v[126:127], v[46:47], s[6:7], v[60:61]
	v_fma_f64 v[60:61], v[46:47], s[0:1], v[60:61]
	v_fma_f64 v[52:53], v[118:119], s[2:3], v[90:91]
	v_mul_f64_e32 v[90:91], s[14:15], v[94:95]
	v_fma_f64 v[54:55], v[118:119], s[10:11], v[96:97]
	v_mul_f64_e32 v[108:109], s[10:11], v[76:77]
	v_mul_f64_e32 v[76:77], s[18:19], v[76:77]
	;; [unrolled: 1-line block ×3, first 2 shown]
	v_fma_f64 v[8:9], v[130:131], s[12:13], v[8:9]
	v_fma_f64 v[64:65], v[28:29], s[2:3], v[64:65]
	;; [unrolled: 1-line block ×3, first 2 shown]
	v_mul_f64_e32 v[118:119], s[14:15], v[134:135]
	v_fma_f64 v[86:87], v[104:105], s[12:13], v[86:87]
	v_fma_f64 v[12:13], v[104:105], s[12:13], v[12:13]
	;; [unrolled: 1-line block ×7, first 2 shown]
	v_mul_f64_e32 v[88:89], s[10:11], v[94:95]
	v_mul_f64_e32 v[94:95], s[6:7], v[138:139]
	;; [unrolled: 1-line block ×4, first 2 shown]
	v_fma_f64 v[92:93], v[46:47], s[2:3], v[132:133]
	v_fma_f64 v[46:47], v[46:47], s[10:11], v[102:103]
	;; [unrolled: 1-line block ×5, first 2 shown]
	v_mul_f64_e32 v[62:63], s[10:11], v[134:135]
	v_mul_f64_e32 v[124:125], s[6:7], v[116:117]
	;; [unrolled: 1-line block ×7, first 2 shown]
	v_fma_f64 v[34:35], v[114:115], s[12:13], v[52:53]
	v_fma_f64 v[54:55], v[114:115], s[12:13], v[54:55]
	;; [unrolled: 1-line block ×28, first 2 shown]
	v_add_f64_e64 v[6:7], v[18:19], -v[40:41]
	v_add_f64_e32 v[8:9], v[42:43], v[36:37]
	v_add_f64_e64 v[12:13], v[42:43], -v[36:37]
	v_add_f64_e32 v[46:47], v[54:55], v[76:77]
	v_lshrrev_b32_e32 v118, 6, v20
	v_add_f64_e32 v[16:17], v[70:71], v[52:53]
	v_add_f64_e32 v[18:19], v[34:35], v[58:59]
	;; [unrolled: 1-line block ×4, first 2 shown]
	v_add_f64_e64 v[32:33], v[44:45], -v[84:85]
	v_add_f64_e32 v[36:37], v[78:79], v[94:95]
	v_add_f64_e32 v[38:39], v[90:91], v[80:81]
	v_add_f64_e64 v[24:25], v[70:71], -v[52:53]
	v_add_f64_e32 v[44:45], v[74:75], v[102:103]
	v_add_f64_e64 v[26:27], v[34:35], -v[58:59]
	v_add_f64_e64 v[34:35], v[64:65], -v[88:89]
	;; [unrolled: 1-line block ×6, first 2 shown]
	v_add_f64_e32 v[54:55], v[82:83], v[62:63]
	v_add_f64_e32 v[56:57], v[92:93], v[60:61]
	v_add_f64_e64 v[58:59], v[82:83], -v[62:63]
	v_add_f64_e32 v[62:63], v[72:73], v[108:109]
	v_add_f64_e32 v[64:65], v[98:99], v[86:87]
	v_add_f64_e64 v[66:67], v[72:73], -v[108:109]
	v_add_f64_e32 v[70:71], v[96:97], v[104:105]
	v_add_f64_e32 v[72:73], v[106:107], v[112:113]
	;; [unrolled: 1-line block ×4, first 2 shown]
	v_add_f64_e64 v[60:61], v[92:93], -v[60:61]
	v_add_f64_e64 v[68:69], v[98:99], -v[86:87]
	;; [unrolled: 1-line block ×6, first 2 shown]
	v_mul_u32_u24_e32 v86, 0x280, v118
	v_mul_u32_u24_e32 v87, 3, v20
	s_delay_alu instid0(VALU_DEP_2) | instskip(NEXT) | instid1(VALU_DEP_2)
	v_or_b32_e32 v86, v86, v49
	v_lshlrev_b32_e32 v49, 4, v87
	s_delay_alu instid0(VALU_DEP_2)
	v_lshl_add_u32 v86, v86, 4, 0
	ds_store_b128 v86, v[0:3]
	ds_store_b128 v86, v[16:19] offset:1024
	ds_store_b128 v86, v[28:31] offset:2048
	;; [unrolled: 1-line block ×9, first 2 shown]
	ds_store_b128 v21, v[8:11]
	ds_store_b128 v21, v[54:57] offset:1024
	ds_store_b128 v21, v[62:65] offset:2048
	;; [unrolled: 1-line block ×9, first 2 shown]
	global_wb scope:SCOPE_SE
	s_wait_dscnt 0x0
	s_barrier_signal -1
	s_barrier_wait -1
	global_inv scope:SCOPE_SE
	s_clause 0xa
	global_load_b128 v[0:3], v49, s[4:5] offset:10176
	global_load_b128 v[4:7], v49, s[4:5] offset:10192
	global_load_b128 v[8:11], v49, s[4:5] offset:10208
	global_load_b128 v[12:15], v49, s[4:5] offset:16320
	global_load_b128 v[16:19], v49, s[4:5] offset:16336
	global_load_b128 v[24:27], v49, s[4:5] offset:16352
	global_load_b128 v[28:31], v49, s[4:5] offset:22464
	global_load_b128 v[32:35], v49, s[4:5] offset:22480
	global_load_b128 v[36:39], v49, s[4:5] offset:22496
	global_load_b128 v[40:43], v49, s[4:5] offset:28608
	global_load_b128 v[44:47], v49, s[4:5] offset:28624
	v_or_b32_e32 v21, 0x6000, v49
	s_clause 0x3
	global_load_b128 v[49:52], v49, s[4:5] offset:28640
	global_load_b128 v[53:56], v21, s[4:5] offset:10176
	global_load_b128 v[57:60], v21, s[4:5] offset:10192
	global_load_b128 v[61:64], v21, s[4:5] offset:10208
	ds_load_b128 v[65:68], v48 offset:10240
	ds_load_b128 v[69:72], v48 offset:20480
	;; [unrolled: 1-line block ×13, first 2 shown]
	s_wait_loadcnt_dscnt 0xe0c
	v_mul_f64_e32 v[117:118], v[67:68], v[2:3]
	v_mul_f64_e32 v[2:3], v[65:66], v[2:3]
	s_wait_loadcnt_dscnt 0xd0b
	v_mul_f64_e32 v[119:120], v[71:72], v[6:7]
	s_wait_loadcnt_dscnt 0xb09
	v_mul_f64_e32 v[123:124], v[79:80], v[14:15]
	v_mul_f64_e32 v[14:15], v[77:78], v[14:15]
	s_wait_loadcnt_dscnt 0xa08
	v_mul_f64_e32 v[125:126], v[83:84], v[18:19]
	v_mul_f64_e32 v[18:19], v[81:82], v[18:19]
	;; [unrolled: 1-line block ×5, first 2 shown]
	s_wait_loadcnt_dscnt 0x906
	v_mul_f64_e32 v[127:128], v[91:92], v[26:27]
	v_mul_f64_e32 v[26:27], v[89:90], v[26:27]
	v_fma_f64 v[117:118], v[65:66], v[0:1], v[117:118]
	v_fma_f64 v[129:130], v[67:68], v[0:1], -v[2:3]
	ds_load_b128 v[0:3], v48 offset:18432
	ds_load_b128 v[65:68], v48 offset:36864
	v_fma_f64 v[77:78], v[77:78], v[12:13], v[123:124]
	v_fma_f64 v[79:80], v[79:80], v[12:13], -v[14:15]
	s_wait_loadcnt_dscnt 0x503
	v_mul_f64_e32 v[12:13], v[111:112], v[42:43]
	v_mul_f64_e32 v[14:15], v[109:110], v[42:43]
	s_wait_loadcnt_dscnt 0x402
	v_mul_f64_e32 v[42:43], v[115:116], v[46:47]
	v_mul_f64_e32 v[46:47], v[113:114], v[46:47]
	v_fma_f64 v[81:82], v[81:82], v[16:17], v[125:126]
	v_fma_f64 v[16:17], v[83:84], v[16:17], -v[18:19]
	v_fma_f64 v[69:70], v[69:70], v[4:5], v[119:120]
	v_fma_f64 v[71:72], v[71:72], v[4:5], -v[6:7]
	ds_load_b128 v[4:7], v48 offset:38912
	v_mul_f64_e32 v[119:120], v[99:100], v[30:31]
	v_mul_f64_e32 v[30:31], v[97:98], v[30:31]
	v_fma_f64 v[73:74], v[73:74], v[8:9], v[121:122]
	v_fma_f64 v[75:76], v[75:76], v[8:9], -v[10:11]
	v_mul_f64_e32 v[8:9], v[107:108], v[34:35]
	v_mul_f64_e32 v[10:11], v[105:106], v[34:35]
	;; [unrolled: 1-line block ×3, first 2 shown]
	s_wait_loadcnt_dscnt 0x202
	v_mul_f64_e32 v[83:84], v[2:3], v[55:56]
	s_wait_dscnt 0x1
	v_mul_f64_e32 v[18:19], v[67:68], v[51:52]
	v_mul_f64_e32 v[51:52], v[65:66], v[51:52]
	;; [unrolled: 1-line block ×4, first 2 shown]
	v_fma_f64 v[89:90], v[89:90], v[24:25], v[127:128]
	v_fma_f64 v[24:25], v[91:92], v[24:25], -v[26:27]
	s_wait_loadcnt 0x1
	v_mul_f64_e32 v[26:27], v[95:96], v[59:60]
	v_mul_f64_e32 v[59:60], v[93:94], v[59:60]
	v_fma_f64 v[42:43], v[113:114], v[44:45], v[42:43]
	v_fma_f64 v[44:45], v[115:116], v[44:45], -v[46:47]
	v_fma_f64 v[97:98], v[97:98], v[28:29], v[119:120]
	v_fma_f64 v[28:29], v[99:100], v[28:29], -v[30:31]
	;; [unrolled: 2-line block ×3, first 2 shown]
	v_fma_f64 v[34:35], v[101:102], v[36:37], v[34:35]
	v_fma_f64 v[18:19], v[65:66], v[49:50], v[18:19]
	v_fma_f64 v[46:47], v[67:68], v[49:50], -v[51:52]
	v_fma_f64 v[49:50], v[0:1], v[53:54], v[83:84]
	v_fma_f64 v[51:52], v[2:3], v[53:54], -v[55:56]
	ds_load_b128 v[0:3], v48
	s_wait_loadcnt_dscnt 0x1
	v_mul_f64_e32 v[91:92], v[6:7], v[63:64]
	v_mul_f64_e32 v[63:64], v[4:5], v[63:64]
	v_fma_f64 v[36:37], v[103:104], v[36:37], -v[38:39]
	v_fma_f64 v[38:39], v[109:110], v[40:41], v[12:13]
	v_fma_f64 v[40:41], v[111:112], v[40:41], -v[14:15]
	v_fma_f64 v[26:27], v[93:94], v[57:58], v[26:27]
	v_fma_f64 v[53:54], v[95:96], v[57:58], -v[59:60]
	v_add_f64_e64 v[65:66], v[129:130], -v[75:76]
	v_add_f64_e64 v[24:25], v[79:80], -v[24:25]
	s_wait_dscnt 0x0
	v_add_f64_e64 v[59:60], v[0:1], -v[69:70]
	v_fma_f64 v[55:56], v[4:5], v[61:62], v[91:92]
	v_fma_f64 v[57:58], v[6:7], v[61:62], -v[63:64]
	ds_load_b128 v[4:7], v48 offset:2048
	ds_load_b128 v[8:11], v48 offset:4096
	;; [unrolled: 1-line block ×3, first 2 shown]
	v_add_f64_e64 v[61:62], v[2:3], -v[71:72]
	v_add_f64_e64 v[63:64], v[117:118], -v[73:74]
	;; [unrolled: 1-line block ×4, first 2 shown]
	global_wb scope:SCOPE_SE
	s_wait_dscnt 0x0
	s_barrier_signal -1
	s_barrier_wait -1
	global_inv scope:SCOPE_SE
	v_fma_f64 v[91:92], v[0:1], 2.0, -v[59:60]
	v_add_f64_e64 v[67:68], v[4:5], -v[81:82]
	v_add_f64_e64 v[69:70], v[6:7], -v[16:17]
	;; [unrolled: 1-line block ×11, first 2 shown]
	v_fma_f64 v[44:45], v[129:130], 2.0, -v[65:66]
	v_fma_f64 v[53:54], v[79:80], 2.0, -v[24:25]
	v_add_f64_e32 v[0:1], v[59:60], v[65:66]
	v_add_f64_e64 v[26:27], v[49:50], -v[55:56]
	v_add_f64_e64 v[36:37], v[51:52], -v[57:58]
	v_fma_f64 v[93:94], v[2:3], 2.0, -v[61:62]
	v_fma_f64 v[42:43], v[117:118], 2.0, -v[63:64]
	;; [unrolled: 1-line block ×4, first 2 shown]
	v_add_f64_e64 v[2:3], v[61:62], -v[63:64]
	v_fma_f64 v[95:96], v[4:5], 2.0, -v[67:68]
	v_fma_f64 v[99:100], v[6:7], 2.0, -v[69:70]
	;; [unrolled: 1-line block ×11, first 2 shown]
	v_add_f64_e32 v[4:5], v[67:68], v[24:25]
	v_add_f64_e64 v[6:7], v[69:70], -v[16:17]
	v_add_f64_e32 v[8:9], v[71:72], v[32:33]
	v_add_f64_e64 v[10:11], v[73:74], -v[30:31]
	;; [unrolled: 2-line block ×3, first 2 shown]
	v_fma_f64 v[49:50], v[49:50], 2.0, -v[26:27]
	v_fma_f64 v[51:52], v[51:52], 2.0, -v[36:37]
	v_add_f64_e32 v[16:17], v[83:84], v[36:37]
	v_add_f64_e64 v[18:19], v[89:90], -v[26:27]
	v_add_f64_e64 v[24:25], v[91:92], -v[42:43]
	;; [unrolled: 1-line block ×3, first 2 shown]
	v_fma_f64 v[44:45], v[59:60], 2.0, -v[0:1]
	v_add_f64_e64 v[30:31], v[99:100], -v[53:54]
	v_add_f64_e64 v[28:29], v[95:96], -v[46:47]
	v_fma_f64 v[46:47], v[61:62], 2.0, -v[2:3]
	v_add_f64_e64 v[32:33], v[77:78], -v[55:56]
	v_add_f64_e64 v[34:35], v[79:80], -v[57:58]
	v_add_f64_e64 v[36:37], v[97:98], -v[38:39]
	v_add_f64_e64 v[38:39], v[101:102], -v[40:41]
	v_fma_f64 v[53:54], v[71:72], 2.0, -v[8:9]
	v_fma_f64 v[55:56], v[73:74], 2.0, -v[10:11]
	;; [unrolled: 1-line block ×4, first 2 shown]
	v_add_f64_e64 v[40:41], v[85:86], -v[49:50]
	v_add_f64_e64 v[42:43], v[87:88], -v[51:52]
	v_fma_f64 v[49:50], v[67:68], 2.0, -v[4:5]
	v_fma_f64 v[51:52], v[69:70], 2.0, -v[6:7]
	;; [unrolled: 1-line block ×14, first 2 shown]
	ds_store_b128 v48, v[4:7] offset:32768
	ds_store_b128 v48, v[8:11] offset:34816
	;; [unrolled: 1-line block ×14, first 2 shown]
	ds_store_b128 v48, v[65:68]
	ds_store_b128 v48, v[69:72] offset:2048
	ds_store_b128 v48, v[73:76] offset:4096
	;; [unrolled: 1-line block ×5, first 2 shown]
	global_wb scope:SCOPE_SE
	s_wait_dscnt 0x0
	s_barrier_signal -1
	s_barrier_wait -1
	global_inv scope:SCOPE_SE
	s_and_saveexec_b32 s0, vcc_lo
	s_cbranch_execz .LBB0_19
; %bb.18:
	v_lshl_add_u32 v36, v20, 4, 0
	v_dual_mov_b32 v21, 0 :: v_dual_add_nc_u32 v8, 0x80, v20
	v_add_co_u32 v37, vcc_lo, s8, v22
	ds_load_b128 v[0:3], v36
	ds_load_b128 v[4:7], v36 offset:2048
	v_dual_mov_b32 v9, v21 :: v_dual_add_nc_u32 v12, 0x100, v20
	v_lshlrev_b64_e32 v[10:11], 4, v[20:21]
	s_wait_alu 0xfffd
	v_add_co_ci_u32_e32 v38, vcc_lo, s9, v23, vcc_lo
	s_delay_alu instid0(VALU_DEP_3) | instskip(SKIP_1) | instid1(VALU_DEP_4)
	v_lshlrev_b64_e32 v[8:9], 4, v[8:9]
	v_dual_mov_b32 v13, v21 :: v_dual_add_nc_u32 v14, 0x180, v20
	v_add_co_u32 v10, vcc_lo, v37, v10
	s_wait_alu 0xfffd
	v_add_co_ci_u32_e32 v11, vcc_lo, v38, v11, vcc_lo
	s_delay_alu instid0(VALU_DEP_4)
	v_add_co_u32 v8, vcc_lo, v37, v8
	s_wait_alu 0xfffd
	v_add_co_ci_u32_e32 v9, vcc_lo, v38, v9, vcc_lo
	v_lshlrev_b64_e32 v[12:13], 4, v[12:13]
	v_mov_b32_e32 v15, v21
	v_dual_mov_b32 v25, v21 :: v_dual_add_nc_u32 v26, 0x300, v20
	s_wait_dscnt 0x1
	global_store_b128 v[10:11], v[0:3], off
	s_wait_dscnt 0x0
	global_store_b128 v[8:9], v[4:7], off
	v_dual_mov_b32 v9, v21 :: v_dual_add_nc_u32 v8, 0x200, v20
	v_add_nc_u32_e32 v24, 0x280, v20
	v_add_co_u32 v16, vcc_lo, v37, v12
	s_wait_alu 0xfffd
	v_add_co_ci_u32_e32 v17, vcc_lo, v38, v13, vcc_lo
	ds_load_b128 v[0:3], v36 offset:4096
	ds_load_b128 v[4:7], v36 offset:6144
	v_lshlrev_b64_e32 v[18:19], 4, v[14:15]
	v_lshlrev_b64_e32 v[22:23], 4, v[8:9]
	ds_load_b128 v[8:11], v36 offset:8192
	ds_load_b128 v[12:15], v36 offset:10240
	v_lshlrev_b64_e32 v[24:25], 4, v[24:25]
	v_mov_b32_e32 v27, v21
	v_add_co_u32 v18, vcc_lo, v37, v18
	s_wait_alu 0xfffd
	v_add_co_ci_u32_e32 v19, vcc_lo, v38, v19, vcc_lo
	v_add_co_u32 v22, vcc_lo, v37, v22
	s_wait_alu 0xfffd
	v_add_co_ci_u32_e32 v23, vcc_lo, v38, v23, vcc_lo
	;; [unrolled: 3-line block ×3, first 2 shown]
	s_wait_dscnt 0x3
	global_store_b128 v[16:17], v[0:3], off
	s_wait_dscnt 0x2
	global_store_b128 v[18:19], v[4:7], off
	;; [unrolled: 2-line block ×4, first 2 shown]
	v_add_nc_u32_e32 v8, 0x380, v20
	v_lshlrev_b64_e32 v[0:1], 4, v[26:27]
	v_dual_mov_b32 v9, v21 :: v_dual_add_nc_u32 v10, 0x400, v20
	v_dual_mov_b32 v11, v21 :: v_dual_add_nc_u32 v24, 0x480, v20
	;; [unrolled: 1-line block ×3, first 2 shown]
	s_delay_alu instid0(VALU_DEP_4)
	v_add_co_u32 v16, vcc_lo, v37, v0
	s_wait_alu 0xfffd
	v_add_co_ci_u32_e32 v17, vcc_lo, v38, v1, vcc_lo
	ds_load_b128 v[0:3], v36 offset:12288
	ds_load_b128 v[4:7], v36 offset:14336
	v_lshlrev_b64_e32 v[18:19], 4, v[8:9]
	v_lshlrev_b64_e32 v[22:23], 4, v[10:11]
	ds_load_b128 v[8:11], v36 offset:16384
	ds_load_b128 v[12:15], v36 offset:18432
	v_lshlrev_b64_e32 v[24:25], 4, v[24:25]
	v_add_co_u32 v18, vcc_lo, v37, v18
	s_wait_alu 0xfffd
	v_add_co_ci_u32_e32 v19, vcc_lo, v38, v19, vcc_lo
	v_add_co_u32 v22, vcc_lo, v37, v22
	s_wait_alu 0xfffd
	v_add_co_ci_u32_e32 v23, vcc_lo, v38, v23, vcc_lo
	;; [unrolled: 3-line block ×3, first 2 shown]
	s_wait_dscnt 0x3
	global_store_b128 v[16:17], v[0:3], off
	s_wait_dscnt 0x2
	global_store_b128 v[18:19], v[4:7], off
	;; [unrolled: 2-line block ×4, first 2 shown]
	v_lshlrev_b64_e32 v[0:1], 4, v[26:27]
	v_dual_mov_b32 v9, v21 :: v_dual_add_nc_u32 v8, 0x580, v20
	v_dual_mov_b32 v11, v21 :: v_dual_add_nc_u32 v10, 0x600, v20
	;; [unrolled: 1-line block ×3, first 2 shown]
	s_delay_alu instid0(VALU_DEP_4)
	v_add_co_u32 v16, vcc_lo, v37, v0
	s_wait_alu 0xfffd
	v_add_co_ci_u32_e32 v17, vcc_lo, v38, v1, vcc_lo
	ds_load_b128 v[0:3], v36 offset:20480
	ds_load_b128 v[4:7], v36 offset:22528
	v_lshlrev_b64_e32 v[18:19], 4, v[8:9]
	v_lshlrev_b64_e32 v[22:23], 4, v[10:11]
	ds_load_b128 v[8:11], v36 offset:24576
	ds_load_b128 v[12:15], v36 offset:26624
	v_lshlrev_b64_e32 v[24:25], 4, v[24:25]
	v_add_nc_u32_e32 v26, 0x700, v20
	v_add_co_u32 v18, vcc_lo, v37, v18
	s_wait_alu 0xfffd
	v_add_co_ci_u32_e32 v19, vcc_lo, v38, v19, vcc_lo
	v_add_co_u32 v22, vcc_lo, v37, v22
	s_wait_alu 0xfffd
	v_add_co_ci_u32_e32 v23, vcc_lo, v38, v23, vcc_lo
	v_add_co_u32 v24, vcc_lo, v37, v24
	s_wait_dscnt 0x3
	global_store_b128 v[16:17], v[0:3], off
	s_wait_dscnt 0x2
	global_store_b128 v[18:19], v[4:7], off
	v_dual_mov_b32 v3, v21 :: v_dual_add_nc_u32 v2, 0x780, v20
	s_wait_alu 0xfffd
	v_add_co_ci_u32_e32 v25, vcc_lo, v38, v25, vcc_lo
	v_lshlrev_b64_e32 v[0:1], 4, v[26:27]
	s_wait_dscnt 0x1
	global_store_b128 v[22:23], v[8:11], off
	s_wait_dscnt 0x0
	global_store_b128 v[24:25], v[12:15], off
	v_mov_b32_e32 v11, v21
	v_lshlrev_b64_e32 v[8:9], 4, v[2:3]
	v_dual_mov_b32 v17, v21 :: v_dual_add_nc_u32 v10, 0x800, v20
	v_add_co_u32 v26, vcc_lo, v37, v0
	s_wait_alu 0xfffd
	v_add_co_ci_u32_e32 v27, vcc_lo, v38, v1, vcc_lo
	s_delay_alu instid0(VALU_DEP_4)
	v_add_co_u32 v28, vcc_lo, v37, v8
	s_wait_alu 0xfffd
	v_add_co_ci_u32_e32 v29, vcc_lo, v38, v9, vcc_lo
	v_lshlrev_b64_e32 v[8:9], 4, v[10:11]
	v_dual_mov_b32 v19, v21 :: v_dual_add_nc_u32 v16, 0x880, v20
	v_add_nc_u32_e32 v18, 0x900, v20
	ds_load_b128 v[0:3], v36 offset:28672
	ds_load_b128 v[4:7], v36 offset:30720
	v_add_nc_u32_e32 v20, 0x980, v20
	v_add_co_u32 v30, vcc_lo, v37, v8
	s_wait_alu 0xfffd
	v_add_co_ci_u32_e32 v31, vcc_lo, v38, v9, vcc_lo
	ds_load_b128 v[8:11], v36 offset:32768
	ds_load_b128 v[12:15], v36 offset:34816
	v_lshlrev_b64_e32 v[32:33], 4, v[16:17]
	v_lshlrev_b64_e32 v[34:35], 4, v[18:19]
	ds_load_b128 v[16:19], v36 offset:36864
	ds_load_b128 v[22:25], v36 offset:38912
	v_lshlrev_b64_e32 v[20:21], 4, v[20:21]
	v_add_co_u32 v32, vcc_lo, v37, v32
	s_wait_alu 0xfffd
	v_add_co_ci_u32_e32 v33, vcc_lo, v38, v33, vcc_lo
	v_add_co_u32 v34, vcc_lo, v37, v34
	s_wait_alu 0xfffd
	v_add_co_ci_u32_e32 v35, vcc_lo, v38, v35, vcc_lo
	;; [unrolled: 3-line block ×3, first 2 shown]
	s_wait_dscnt 0x5
	global_store_b128 v[26:27], v[0:3], off
	s_wait_dscnt 0x4
	global_store_b128 v[28:29], v[4:7], off
	;; [unrolled: 2-line block ×6, first 2 shown]
.LBB0_19:
	s_nop 0
	s_sendmsg sendmsg(MSG_DEALLOC_VGPRS)
	s_endpgm
	.section	.rodata,"a",@progbits
	.p2align	6, 0x0
	.amdhsa_kernel fft_rtc_back_len2560_factors_4_4_4_10_4_wgs_128_tpt_128_halfLds_dp_ip_CI_unitstride_sbrr_C2R_dirReg
		.amdhsa_group_segment_fixed_size 0
		.amdhsa_private_segment_fixed_size 0
		.amdhsa_kernarg_size 88
		.amdhsa_user_sgpr_count 2
		.amdhsa_user_sgpr_dispatch_ptr 0
		.amdhsa_user_sgpr_queue_ptr 0
		.amdhsa_user_sgpr_kernarg_segment_ptr 1
		.amdhsa_user_sgpr_dispatch_id 0
		.amdhsa_user_sgpr_private_segment_size 0
		.amdhsa_wavefront_size32 1
		.amdhsa_uses_dynamic_stack 0
		.amdhsa_enable_private_segment 0
		.amdhsa_system_sgpr_workgroup_id_x 1
		.amdhsa_system_sgpr_workgroup_id_y 0
		.amdhsa_system_sgpr_workgroup_id_z 0
		.amdhsa_system_sgpr_workgroup_info 0
		.amdhsa_system_vgpr_workitem_id 0
		.amdhsa_next_free_vgpr 142
		.amdhsa_next_free_sgpr 32
		.amdhsa_reserve_vcc 1
		.amdhsa_float_round_mode_32 0
		.amdhsa_float_round_mode_16_64 0
		.amdhsa_float_denorm_mode_32 3
		.amdhsa_float_denorm_mode_16_64 3
		.amdhsa_fp16_overflow 0
		.amdhsa_workgroup_processor_mode 1
		.amdhsa_memory_ordered 1
		.amdhsa_forward_progress 0
		.amdhsa_round_robin_scheduling 0
		.amdhsa_exception_fp_ieee_invalid_op 0
		.amdhsa_exception_fp_denorm_src 0
		.amdhsa_exception_fp_ieee_div_zero 0
		.amdhsa_exception_fp_ieee_overflow 0
		.amdhsa_exception_fp_ieee_underflow 0
		.amdhsa_exception_fp_ieee_inexact 0
		.amdhsa_exception_int_div_zero 0
	.end_amdhsa_kernel
	.text
.Lfunc_end0:
	.size	fft_rtc_back_len2560_factors_4_4_4_10_4_wgs_128_tpt_128_halfLds_dp_ip_CI_unitstride_sbrr_C2R_dirReg, .Lfunc_end0-fft_rtc_back_len2560_factors_4_4_4_10_4_wgs_128_tpt_128_halfLds_dp_ip_CI_unitstride_sbrr_C2R_dirReg
                                        ; -- End function
	.section	.AMDGPU.csdata,"",@progbits
; Kernel info:
; codeLenInByte = 13928
; NumSgprs: 34
; NumVgprs: 142
; ScratchSize: 0
; MemoryBound: 0
; FloatMode: 240
; IeeeMode: 1
; LDSByteSize: 0 bytes/workgroup (compile time only)
; SGPRBlocks: 4
; VGPRBlocks: 17
; NumSGPRsForWavesPerEU: 34
; NumVGPRsForWavesPerEU: 142
; Occupancy: 10
; WaveLimiterHint : 1
; COMPUTE_PGM_RSRC2:SCRATCH_EN: 0
; COMPUTE_PGM_RSRC2:USER_SGPR: 2
; COMPUTE_PGM_RSRC2:TRAP_HANDLER: 0
; COMPUTE_PGM_RSRC2:TGID_X_EN: 1
; COMPUTE_PGM_RSRC2:TGID_Y_EN: 0
; COMPUTE_PGM_RSRC2:TGID_Z_EN: 0
; COMPUTE_PGM_RSRC2:TIDIG_COMP_CNT: 0
	.text
	.p2alignl 7, 3214868480
	.fill 96, 4, 3214868480
	.type	__hip_cuid_f32ae7fe21cb1f14,@object ; @__hip_cuid_f32ae7fe21cb1f14
	.section	.bss,"aw",@nobits
	.globl	__hip_cuid_f32ae7fe21cb1f14
__hip_cuid_f32ae7fe21cb1f14:
	.byte	0                               ; 0x0
	.size	__hip_cuid_f32ae7fe21cb1f14, 1

	.ident	"AMD clang version 19.0.0git (https://github.com/RadeonOpenCompute/llvm-project roc-6.4.0 25133 c7fe45cf4b819c5991fe208aaa96edf142730f1d)"
	.section	".note.GNU-stack","",@progbits
	.addrsig
	.addrsig_sym __hip_cuid_f32ae7fe21cb1f14
	.amdgpu_metadata
---
amdhsa.kernels:
  - .args:
      - .actual_access:  read_only
        .address_space:  global
        .offset:         0
        .size:           8
        .value_kind:     global_buffer
      - .offset:         8
        .size:           8
        .value_kind:     by_value
      - .actual_access:  read_only
        .address_space:  global
        .offset:         16
        .size:           8
        .value_kind:     global_buffer
      - .actual_access:  read_only
        .address_space:  global
        .offset:         24
        .size:           8
        .value_kind:     global_buffer
      - .offset:         32
        .size:           8
        .value_kind:     by_value
      - .actual_access:  read_only
        .address_space:  global
        .offset:         40
        .size:           8
        .value_kind:     global_buffer
      - .actual_access:  read_only
        .address_space:  global
        .offset:         48
        .size:           8
        .value_kind:     global_buffer
      - .offset:         56
        .size:           4
        .value_kind:     by_value
      - .actual_access:  read_only
        .address_space:  global
        .offset:         64
        .size:           8
        .value_kind:     global_buffer
      - .actual_access:  read_only
        .address_space:  global
        .offset:         72
        .size:           8
        .value_kind:     global_buffer
      - .address_space:  global
        .offset:         80
        .size:           8
        .value_kind:     global_buffer
    .group_segment_fixed_size: 0
    .kernarg_segment_align: 8
    .kernarg_segment_size: 88
    .language:       OpenCL C
    .language_version:
      - 2
      - 0
    .max_flat_workgroup_size: 128
    .name:           fft_rtc_back_len2560_factors_4_4_4_10_4_wgs_128_tpt_128_halfLds_dp_ip_CI_unitstride_sbrr_C2R_dirReg
    .private_segment_fixed_size: 0
    .sgpr_count:     34
    .sgpr_spill_count: 0
    .symbol:         fft_rtc_back_len2560_factors_4_4_4_10_4_wgs_128_tpt_128_halfLds_dp_ip_CI_unitstride_sbrr_C2R_dirReg.kd
    .uniform_work_group_size: 1
    .uses_dynamic_stack: false
    .vgpr_count:     142
    .vgpr_spill_count: 0
    .wavefront_size: 32
    .workgroup_processor_mode: 1
amdhsa.target:   amdgcn-amd-amdhsa--gfx1201
amdhsa.version:
  - 1
  - 2
...

	.end_amdgpu_metadata
